;; amdgpu-corpus repo=zjin-lcf/HeCBench kind=compiled arch=gfx1250 opt=O3
	.amdgcn_target "amdgcn-amd-amdhsa--gfx1250"
	.amdhsa_code_object_version 6
	.text
	.protected	_Z9make_flagPcPiS_5BoxCU10outer_walliiii ; -- Begin function _Z9make_flagPcPiS_5BoxCU10outer_walliiii
	.globl	_Z9make_flagPcPiS_5BoxCU10outer_walliiii
	.p2align	8
	.type	_Z9make_flagPcPiS_5BoxCU10outer_walliiii,@function
_Z9make_flagPcPiS_5BoxCU10outer_walliiii: ; @_Z9make_flagPcPiS_5BoxCU10outer_walliiii
; %bb.0:
	s_load_b64 s[20:21], s[0:1], 0x28
	s_bfe_u32 s2, ttmp6, 0x40014
	s_lshr_b32 s3, ttmp7, 16
	s_add_co_i32 s2, s2, 1
	s_bfe_u32 s5, ttmp6, 0x40008
	s_mul_i32 s4, s3, s2
	s_getreg_b32 s2, hwreg(HW_REG_IB_STS2, 6, 4)
	s_add_co_i32 s5, s5, s4
	s_cmp_eq_u32 s2, 0
	s_mov_b32 s19, 0
	s_cselect_b32 s33, s3, s5
	s_wait_kmcnt 0x0
	s_cmp_ge_i32 s33, s21
	s_cbranch_scc1 .LBB0_103
; %bb.1:
	s_load_b128 s[8:11], s[0:1], 0x30
	s_bfe_u32 s4, ttmp6, 0x4000c
	s_bfe_u32 s6, ttmp6, 0x40010
	s_and_b32 s5, ttmp7, 0xffff
	s_add_co_i32 s4, s4, 1
	s_add_co_i32 s6, s6, 1
	s_and_b32 s3, ttmp6, 15
	s_bfe_u32 s7, ttmp6, 0x40004
	s_mul_i32 s4, ttmp9, s4
	s_mul_i32 s6, s5, s6
	s_add_co_i32 s3, s3, s4
	s_add_co_i32 s7, s7, s6
	s_cmp_eq_u32 s2, 0
	s_clause 0x1
	s_load_b96 s[16:18], s[0:1], 0x48
	s_load_b64 s[22:23], s[0:1], 0x40
	s_cselect_b32 s2, s5, s7
	s_cselect_b32 s52, ttmp9, s3
	s_load_b128 s[4:7], s[0:1], 0x18
	v_bfe_u32 v1, v0, 10, 10
	s_add_nc_u64 s[28:29], s[0:1], 0x58
	s_wait_kmcnt 0x0
	s_cmp_gt_i32 s9, 6
	v_and_b32_e32 v7, 0x3ff, v0
	s_cselect_b32 s53, -1, 0
	s_ashr_i32 s3, s9, 31
	s_cmp_lg_u32 s9, 7
	v_dual_mov_b32 v9, 9 :: v_dual_mov_b32 v10, 4
	s_cselect_b32 s54, -1, 0
	s_cmp_lg_u32 s9, 8
	v_dual_mov_b32 v11, 3 :: v_dual_mov_b32 v12, 2
	s_cselect_b32 s38, -1, 0
	s_cmp_eq_u32 s9, 4
	v_dual_mov_b32 v13, 5 :: v_dual_mov_b32 v14, s9
	s_cselect_b32 s55, -1, 0
	s_cmp_gt_i32 s8, 6
	v_mov_b32_e32 v15, s11
	s_cselect_b32 s56, -1, 0
	s_ashr_i32 s43, s8, 31
	s_cmp_lg_u32 s8, 7
	s_mov_b32 s42, s8
	s_cselect_b32 s57, -1, 0
	s_cmp_lg_u32 s8, 8
	s_mov_b32 s44, s11
	s_cselect_b32 s39, -1, 0
	s_cmp_eq_u32 s8, 4
	s_mov_b32 s46, s10
	s_cselect_b32 s58, -1, 0
	s_add_co_i32 s59, s17, -1
	s_cmp_gt_i32 s11, 6
	s_load_u16 s17, s[0:1], 0x66
	s_cselect_b32 s60, -1, 0
	s_ashr_i32 s45, s11, 31
	s_cmp_lg_u32 s11, 7
	s_clause 0x2
	s_load_b64 s[24:25], s[0:1], 0x5c
	s_load_b128 s[12:15], s[0:1], 0x0
	s_load_b64 s[26:27], s[0:1], 0x10
	s_cselect_b32 s61, -1, 0
	s_cmp_lg_u32 s11, 8
	s_mov_b32 s48, s23
	s_cselect_b32 s40, -1, 0
	s_cmp_eq_u32 s11, 4
	s_mov_b32 s50, s22
	s_cselect_b32 s62, -1, 0
	s_cmp_gt_i32 s10, 6
	s_mov_b32 s37, s19
	s_cselect_b32 s63, -1, 0
	s_ashr_i32 s47, s10, 31
	s_cmp_lg_u32 s10, 7
	v_mov_b32_e32 v8, 1
	s_cselect_b32 s64, -1, 0
	s_cmp_lg_u32 s10, 8
	s_wait_kmcnt 0x0
	v_mad_u32 v6, s2, s17, v1
	s_cselect_b32 s41, -1, 0
	s_cmp_eq_u32 s10, 4
	s_mul_i32 s24, s24, s17
	s_cselect_b32 s65, -1, 0
	s_add_co_i32 s66, s18, -1
	s_cmp_gt_i32 s23, 6
	s_cselect_b32 s67, -1, 0
	s_ashr_i32 s49, s23, 31
	s_cmp_lg_u32 s23, 7
	s_delay_alu instid0(VALU_DEP_1)
	v_cmp_gt_i32_e64 s0, s7, v6
	s_cselect_b32 s68, -1, 0
	s_cmp_lg_u32 s23, 8
	s_cselect_b32 s18, -1, 0
	s_cmp_eq_u32 s23, 4
	s_cselect_b32 s69, -1, 0
	s_cmp_gt_i32 s22, 6
	s_cselect_b32 s70, -1, 0
	s_ashr_i32 s51, s22, 31
	s_cmp_lg_u32 s22, 7
	s_cselect_b32 s71, -1, 0
	s_cmp_lg_u32 s22, 8
	s_cselect_b32 s83, -1, 0
	s_cmp_eq_u32 s22, 4
	s_cselect_b32 s72, -1, 0
	s_abs_i32 s73, s5
	s_abs_i32 s74, s7
	s_cvt_f32_u32 s2, s73
	s_cvt_f32_u32 s30, s74
	s_abs_i32 s75, s21
	s_not_b32 s76, s4
	v_rcp_iflag_f32_e32 v1, s2
	s_cvt_f32_u32 s31, s75
	v_rcp_iflag_f32_e32 v0, s30
	s_sub_co_i32 s30, 0, s73
	s_sub_co_i32 s35, 0, s75
	s_add_co_i32 s76, s76, s16
	s_mov_b32 s2, s9
	v_readfirstlane_b32 s1, v1
	v_rcp_iflag_f32_e32 v1, s31
	v_nop
	v_readfirstlane_b32 s31, v0
	s_sub_co_i32 s77, 0, s4
	s_xor_b32 s78, s38, -1
	s_mul_f32 s1, s1, 0x4f7ffffe
	s_xor_b32 s79, s39, -1
	s_mul_f32 s31, s31, 0x4f7ffffe
	v_readfirstlane_b32 s34, v1
	s_cvt_u32_f32 s1, s1
	v_mov_b32_e32 v1, 0
	s_cvt_u32_f32 s17, s31
	s_mov_b32 s31, s19
	s_mul_i32 s30, s30, s1
	s_xor_b32 s80, s40, -1
	s_mul_hi_u32 s30, s1, s30
	s_xor_b32 s81, s41, -1
	s_add_co_i32 s30, s1, s30
	s_mul_f32 s1, s34, 0x4f7ffffe
	s_sub_co_i32 s34, 0, s74
	s_xor_b32 s82, s18, -1
	s_mul_i32 s34, s34, s17
	s_cvt_u32_f32 s1, s1
	s_mul_hi_u32 s34, s17, s34
	s_xor_b32 s83, s83, -1
	s_add_co_i32 s34, s17, s34
	s_mul_i32 s35, s35, s1
	s_delay_alu instid0(SALU_CYCLE_1)
	s_mul_hi_u32 s17, s1, s35
	s_mov_b32 s35, s19
	s_add_co_i32 s36, s1, s17
	s_get_pc_i64 s[16:17]
	s_add_nc_u64 s[16:17], s[16:17], _ZL3C_p@gotpcrel+4
	s_add_co_i32 s1, s5, s76
	s_load_b64 s[16:17], s[16:17], 0x0
	s_ashr_i32 s84, s1, 31
	s_abs_i32 s38, s1
	s_wait_kmcnt 0x0
	s_add_nc_u64 s[40:41], s[16:17], s[2:3]
	s_add_nc_u64 s[42:43], s[16:17], s[42:43]
	;; [unrolled: 1-line block ×6, first 2 shown]
	s_branch .LBB0_3
.LBB0_2:                                ;   in Loop: Header=BB0_3 Depth=1
	s_or_b32 exec_lo, exec_lo, s9
	s_add_co_i32 s33, s25, s33
	s_delay_alu instid0(SALU_CYCLE_1)
	s_cmp_ge_i32 s33, s21
	s_cbranch_scc1 .LBB0_103
.LBB0_3:                                ; =>This Loop Header: Depth=1
                                        ;     Child Loop BB0_6 Depth 2
                                        ;       Child Loop BB0_10 Depth 3
	s_and_saveexec_b32 s9, s0
	s_cbranch_execz .LBB0_2
; %bb.4:                                ;   in Loop: Header=BB0_3 Depth=1
	s_clause 0x1
	s_load_b32 s1, s[28:29], 0xc
	s_load_b32 s87, s[28:29], 0x0
	s_add_co_i32 s2, s33, s20
	s_add_co_i32 s4, s33, s21
	v_mov_b32_e32 v17, v6
	s_mov_b32 s86, 0
	s_wait_kmcnt 0x0
	s_and_b32 s39, s1, 0xffff
	s_cmp_lg_u32 s2, 0
	v_mad_u32 v16, s52, s39, v7
	s_cselect_b32 s11, -1, 0
	s_cmp_eq_u32 s2, s66
	s_mul_i32 s87, s87, s39
	s_cselect_b32 s85, -1, 0
	s_abs_i32 s18, s4
	s_delay_alu instid0(SALU_CYCLE_1) | instskip(SKIP_2) | instid1(SALU_CYCLE_1)
	s_mul_u64 s[2:3], s[18:19], s[36:37]
	s_ashr_i32 s2, s4, 31
	s_mul_i32 s1, s3, s75
	s_sub_co_i32 s1, s18, s1
	s_delay_alu instid0(SALU_CYCLE_1) | instskip(SKIP_2) | instid1(SALU_CYCLE_1)
	s_sub_co_i32 s3, s1, s75
	s_cmp_ge_u32 s1, s75
	s_cselect_b32 s1, s3, s1
	s_sub_co_i32 s3, s1, s75
	s_cmp_ge_u32 s1, s75
	s_cselect_b32 s3, s3, s1
	v_cmp_gt_i32_e64 s1, s5, v16
	s_xor_b32 s3, s3, s2
	s_delay_alu instid0(SALU_CYCLE_1) | instskip(NEXT) | instid1(SALU_CYCLE_1)
	s_sub_co_i32 s88, s3, s2
	s_mul_i32 s88, s88, s7
	s_branch .LBB0_6
.LBB0_5:                                ;   in Loop: Header=BB0_6 Depth=2
	s_or_b32 exec_lo, exec_lo, s89
	v_add_nc_u32_e32 v17, s24, v17
	s_delay_alu instid0(VALU_DEP_1) | instskip(SKIP_1) | instid1(SALU_CYCLE_1)
	v_cmp_le_i32_e32 vcc_lo, s7, v17
	s_or_b32 s86, vcc_lo, s86
	s_and_not1_b32 exec_lo, exec_lo, s86
	s_cbranch_execz .LBB0_2
.LBB0_6:                                ;   Parent Loop BB0_3 Depth=1
                                        ; =>  This Loop Header: Depth=2
                                        ;       Child Loop BB0_10 Depth 3
	s_and_saveexec_b32 s89, s1
	s_cbranch_execz .LBB0_5
; %bb.7:                                ;   in Loop: Header=BB0_6 Depth=2
	v_add_nc_u32_e32 v4, s7, v17
	s_mov_b32 s90, 0
	s_delay_alu instid0(VALU_DEP_1) | instskip(NEXT) | instid1(VALU_DEP_1)
	v_dual_mov_b32 v19, v16 :: v_dual_sub_nc_u32 v0, 0, v4
	v_max_i32_e32 v0, v4, v0
	s_delay_alu instid0(VALU_DEP_1) | instskip(NEXT) | instid1(VALU_DEP_1)
	v_mul_u64_e32 v[2:3], s[34:35], v[0:1]
	v_mul_lo_u32 v2, v3, s74
	s_delay_alu instid0(VALU_DEP_1) | instskip(NEXT) | instid1(VALU_DEP_1)
	v_dual_sub_nc_u32 v0, v0, v2 :: v_dual_ashrrev_i32 v3, 31, v4
	v_subrev_nc_u32_e32 v2, s74, v0
	v_cmp_le_u32_e32 vcc_lo, s74, v0
	s_delay_alu instid0(VALU_DEP_2) | instskip(NEXT) | instid1(VALU_DEP_1)
	v_cndmask_b32_e32 v0, v0, v2, vcc_lo
	v_subrev_nc_u32_e32 v2, s74, v0
	v_cmp_le_u32_e32 vcc_lo, s74, v0
	s_delay_alu instid0(VALU_DEP_2) | instskip(NEXT) | instid1(VALU_DEP_1)
	v_dual_cndmask_b32 v0, v0, v2, vcc_lo :: v_dual_add_nc_u32 v2, s6, v17
	v_xor_b32_e32 v0, v0, v3
	s_delay_alu instid0(VALU_DEP_2) | instskip(SKIP_1) | instid1(VALU_DEP_3)
	v_cmp_ne_u32_e64 s2, 0, v2
	v_cmp_eq_u32_e64 s3, s59, v2
	v_sub_nc_u32_e32 v0, v0, v3
	s_delay_alu instid0(VALU_DEP_1) | instskip(NEXT) | instid1(VALU_DEP_1)
	v_add_nc_u32_e32 v0, s88, v0
	v_mul_lo_u32 v18, v0, s5
	s_branch .LBB0_10
.LBB0_8:                                ;   in Loop: Header=BB0_10 Depth=3
	s_wait_xcnt 0x0
	s_or_b32 exec_lo, exec_lo, s4
.LBB0_9:                                ;   in Loop: Header=BB0_10 Depth=3
	v_add_nc_u32_e32 v19, s87, v19
	s_delay_alu instid0(VALU_DEP_1) | instskip(SKIP_1) | instid1(SALU_CYCLE_1)
	v_cmp_le_i32_e32 vcc_lo, s5, v19
	s_or_b32 s90, vcc_lo, s90
	s_and_not1_b32 exec_lo, exec_lo, s90
	s_cbranch_execz .LBB0_5
.LBB0_10:                               ;   Parent Loop BB0_3 Depth=1
                                        ;     Parent Loop BB0_6 Depth=2
                                        ; =>    This Inner Loop Header: Depth=3
	s_mov_b32 s4, exec_lo
	v_cmpx_ne_u32_e64 s77, v19
	s_xor_b32 s18, exec_lo, s4
	s_cbranch_execnz .LBB0_13
; %bb.11:                               ;   in Loop: Header=BB0_10 Depth=3
	s_and_not1_saveexec_b32 s39, s18
	s_cbranch_execnz .LBB0_28
.LBB0_12:                               ;   in Loop: Header=BB0_10 Depth=3
	s_or_b32 exec_lo, exec_lo, s39
	s_and_saveexec_b32 s4, s2
	s_delay_alu instid0(SALU_CYCLE_1)
	s_xor_b32 s18, exec_lo, s4
	s_cbranch_execnz .LBB0_42
	s_branch .LBB0_57
.LBB0_13:                               ;   in Loop: Header=BB0_10 Depth=3
	s_mov_b32 s91, exec_lo
	v_cmpx_eq_u32_e64 s76, v19
	s_cbranch_execz .LBB0_27
; %bb.14:                               ;   in Loop: Header=BB0_10 Depth=3
	s_mov_b32 s39, s19
	s_delay_alu instid0(SALU_CYCLE_1) | instskip(NEXT) | instid1(SALU_CYCLE_1)
	s_mul_u64 s[92:93], s[38:39], s[30:31]
	s_mul_i32 s4, s93, s73
	s_delay_alu instid0(SALU_CYCLE_1) | instskip(NEXT) | instid1(SALU_CYCLE_1)
	s_sub_co_i32 s4, s38, s4
	s_sub_co_i32 s39, s4, s73
	s_cmp_ge_u32 s4, s73
	s_cselect_b32 s4, s39, s4
	s_delay_alu instid0(SALU_CYCLE_1) | instskip(SKIP_4) | instid1(SALU_CYCLE_1)
	s_sub_co_i32 s39, s4, s73
	s_cmp_ge_u32 s4, s73
	s_cselect_b32 s4, s39, s4
	s_and_not1_b32 vcc_lo, exec_lo, s53
	s_xor_b32 s4, s4, s84
	s_sub_co_i32 s4, s4, s84
	s_delay_alu instid0(SALU_CYCLE_1) | instskip(NEXT) | instid1(VALU_DEP_1)
	v_add_nc_u32_e32 v4, s4, v18
	v_ashrrev_i32_e32 v5, 31, v4
	s_cbranch_vccnz .LBB0_16
; %bb.15:                               ;   in Loop: Header=BB0_10 Depth=3
	s_delay_alu instid0(VALU_DEP_1)
	v_add_nc_u64_e32 v[2:3], s[26:27], v[4:5]
	global_store_b8 v[2:3], v8, off
.LBB0_16:                               ;   in Loop: Header=BB0_10 Depth=3
	s_wait_xcnt 0x0
	s_delay_alu instid0(VALU_DEP_1) | instskip(SKIP_4) | instid1(VALU_DEP_1)
	v_add_nc_u64_e32 v[2:3], s[12:13], v[4:5]
	s_mov_b32 s4, exec_lo
	global_load_u8 v20, v[2:3], off
	s_wait_loadcnt 0x0
	v_bfe_i32 v22, v20, 0, 8
	v_ashrrev_i32_e32 v23, 31, v22
	s_delay_alu instid0(VALU_DEP_1)
	v_add_nc_u64_e32 v[22:23], s[16:17], v[22:23]
	s_clause 0x1
	global_load_i8 v0, v[22:23], off
	global_load_i8 v21, v1, s[40:41]
	s_wait_loadcnt 0x0
	s_wait_xcnt 0x0
	v_cmpx_ge_i16_e64 v0, v21
	s_xor_b32 s39, exec_lo, s4
	s_cbranch_execz .LBB0_24
; %bb.17:                               ;   in Loop: Header=BB0_10 Depth=3
	v_and_b32_e32 v0, 0xff, v20
	s_and_not1_b32 vcc_lo, exec_lo, s54
	s_delay_alu instid0(VALU_DEP_1)
	v_cmp_ne_u16_e64 s4, 4, v0
	s_cbranch_vccnz .LBB0_19
; %bb.18:                               ;   in Loop: Header=BB0_10 Depth=3
	v_add_nc_u16 v4, v20, -9
	s_delay_alu instid0(VALU_DEP_1) | instskip(NEXT) | instid1(VALU_DEP_1)
	v_and_b32_e32 v4, 0xff, v4
	v_cmp_lt_u16_e32 vcc_lo, 0xfd, v4
	s_or_b32 s92, s78, vcc_lo
	s_delay_alu instid0(SALU_CYCLE_1) | instskip(NEXT) | instid1(SALU_CYCLE_1)
	s_and_b32 s4, s4, s92
	s_and_b32 s4, s4, exec_lo
	s_cbranch_execz .LBB0_20
	s_branch .LBB0_21
.LBB0_19:                               ;   in Loop: Header=BB0_10 Depth=3
	s_mov_b32 s4, 0
.LBB0_20:                               ;   in Loop: Header=BB0_10 Depth=3
	v_cmp_ne_u16_e32 vcc_lo, 4, v0
	s_and_not1_b32 s4, s4, exec_lo
	s_and_b32 s92, vcc_lo, exec_lo
	s_delay_alu instid0(SALU_CYCLE_1)
	s_or_b32 s4, s4, s92
.LBB0_21:                               ;   in Loop: Header=BB0_10 Depth=3
	s_delay_alu instid0(SALU_CYCLE_1)
	s_and_saveexec_b32 s92, s4
	s_cbranch_execz .LBB0_23
; %bb.22:                               ;   in Loop: Header=BB0_10 Depth=3
	global_store_b8 v[2:3], v9, off
.LBB0_23:                               ;   in Loop: Header=BB0_10 Depth=3
	s_wait_xcnt 0x0
	s_or_b32 exec_lo, exec_lo, s92
                                        ; implicit-def: $vgpr2_vgpr3
                                        ; implicit-def: $vgpr4_vgpr5
.LBB0_24:                               ;   in Loop: Header=BB0_10 Depth=3
	s_and_not1_saveexec_b32 s4, s39
	s_cbranch_execz .LBB0_27
; %bb.25:                               ;   in Loop: Header=BB0_10 Depth=3
	s_and_not1_b32 vcc_lo, exec_lo, s55
	global_store_b8 v[2:3], v14, off
	s_cbranch_vccnz .LBB0_27
; %bb.26:                               ;   in Loop: Header=BB0_10 Depth=3
	s_wait_xcnt 0x0
	v_lshl_add_u64 v[2:3], v[4:5], 2, s[14:15]
	global_store_b32 v[2:3], v10, off
.LBB0_27:                               ;   in Loop: Header=BB0_10 Depth=3
	s_wait_xcnt 0x0
	s_or_b32 exec_lo, exec_lo, s91
	s_and_not1_saveexec_b32 s39, s18
	s_cbranch_execz .LBB0_12
.LBB0_28:                               ;   in Loop: Header=BB0_10 Depth=3
	s_add_co_i32 s4, s5, s77
	s_delay_alu instid0(SALU_CYCLE_1) | instskip(SKIP_2) | instid1(SALU_CYCLE_1)
	s_abs_i32 s18, s4
	s_ashr_i32 s4, s4, 31
	s_mul_u64 s[92:93], s[18:19], s[30:31]
	s_mul_i32 s91, s93, s73
	s_delay_alu instid0(SALU_CYCLE_1) | instskip(NEXT) | instid1(SALU_CYCLE_1)
	s_sub_co_i32 s18, s18, s91
	s_sub_co_i32 s91, s18, s73
	s_cmp_ge_u32 s18, s73
	s_cselect_b32 s18, s91, s18
	s_delay_alu instid0(SALU_CYCLE_1) | instskip(SKIP_4) | instid1(SALU_CYCLE_1)
	s_sub_co_i32 s91, s18, s73
	s_cmp_ge_u32 s18, s73
	s_cselect_b32 s18, s91, s18
	s_and_not1_b32 vcc_lo, exec_lo, s56
	s_xor_b32 s18, s18, s4
	s_sub_co_i32 s4, s18, s4
	s_delay_alu instid0(SALU_CYCLE_1) | instskip(NEXT) | instid1(VALU_DEP_1)
	v_add_nc_u32_e32 v4, s4, v18
	v_ashrrev_i32_e32 v5, 31, v4
	s_cbranch_vccnz .LBB0_30
; %bb.29:                               ;   in Loop: Header=BB0_10 Depth=3
	s_delay_alu instid0(VALU_DEP_1)
	v_add_nc_u64_e32 v[2:3], s[26:27], v[4:5]
	global_store_b8 v[2:3], v1, off
.LBB0_30:                               ;   in Loop: Header=BB0_10 Depth=3
	s_wait_xcnt 0x0
	s_delay_alu instid0(VALU_DEP_1) | instskip(SKIP_4) | instid1(VALU_DEP_1)
	v_add_nc_u64_e32 v[2:3], s[12:13], v[4:5]
	s_mov_b32 s4, exec_lo
	global_load_u8 v20, v[2:3], off
	s_wait_loadcnt 0x0
	v_bfe_i32 v22, v20, 0, 8
	v_ashrrev_i32_e32 v23, 31, v22
	s_delay_alu instid0(VALU_DEP_1)
	v_add_nc_u64_e32 v[22:23], s[16:17], v[22:23]
	s_clause 0x1
	global_load_i8 v0, v[22:23], off
	global_load_i8 v21, v1, s[42:43]
	s_wait_loadcnt 0x0
	s_wait_xcnt 0x0
	v_cmpx_ge_i16_e64 v0, v21
	s_xor_b32 s18, exec_lo, s4
	s_cbranch_execz .LBB0_38
; %bb.31:                               ;   in Loop: Header=BB0_10 Depth=3
	v_and_b32_e32 v0, 0xff, v20
	s_and_not1_b32 vcc_lo, exec_lo, s57
	s_delay_alu instid0(VALU_DEP_1)
	v_cmp_ne_u16_e64 s4, 4, v0
	s_cbranch_vccnz .LBB0_33
; %bb.32:                               ;   in Loop: Header=BB0_10 Depth=3
	v_add_nc_u16 v4, v20, -9
	s_delay_alu instid0(VALU_DEP_1) | instskip(NEXT) | instid1(VALU_DEP_1)
	v_and_b32_e32 v4, 0xff, v4
	v_cmp_lt_u16_e32 vcc_lo, 0xfd, v4
	s_or_b32 s91, s79, vcc_lo
	s_delay_alu instid0(SALU_CYCLE_1) | instskip(NEXT) | instid1(SALU_CYCLE_1)
	s_and_b32 s4, s4, s91
	s_and_b32 s4, s4, exec_lo
	s_cbranch_execz .LBB0_34
	s_branch .LBB0_35
.LBB0_33:                               ;   in Loop: Header=BB0_10 Depth=3
	s_mov_b32 s4, 0
.LBB0_34:                               ;   in Loop: Header=BB0_10 Depth=3
	v_cmp_ne_u16_e32 vcc_lo, 4, v0
	s_and_not1_b32 s4, s4, exec_lo
	s_and_b32 s91, vcc_lo, exec_lo
	s_delay_alu instid0(SALU_CYCLE_1)
	s_or_b32 s4, s4, s91
.LBB0_35:                               ;   in Loop: Header=BB0_10 Depth=3
	s_delay_alu instid0(SALU_CYCLE_1)
	s_and_saveexec_b32 s91, s4
	s_cbranch_execz .LBB0_37
; %bb.36:                               ;   in Loop: Header=BB0_10 Depth=3
	global_store_b8 v[2:3], v9, off
.LBB0_37:                               ;   in Loop: Header=BB0_10 Depth=3
	s_wait_xcnt 0x0
	s_or_b32 exec_lo, exec_lo, s91
                                        ; implicit-def: $vgpr2_vgpr3
                                        ; implicit-def: $vgpr4_vgpr5
.LBB0_38:                               ;   in Loop: Header=BB0_10 Depth=3
	s_and_not1_saveexec_b32 s4, s18
	s_cbranch_execz .LBB0_41
; %bb.39:                               ;   in Loop: Header=BB0_10 Depth=3
	v_mov_b32_e32 v0, s8
	s_and_not1_b32 vcc_lo, exec_lo, s58
	global_store_b8 v[2:3], v0, off
	s_cbranch_vccnz .LBB0_41
; %bb.40:                               ;   in Loop: Header=BB0_10 Depth=3
	s_wait_xcnt 0x0
	v_lshl_add_u64 v[2:3], v[4:5], 2, s[14:15]
	global_store_b32 v[2:3], v10, off
.LBB0_41:                               ;   in Loop: Header=BB0_10 Depth=3
	s_wait_xcnt 0x0
	s_or_b32 exec_lo, exec_lo, s4
	s_delay_alu instid0(SALU_CYCLE_1) | instskip(SKIP_1) | instid1(SALU_CYCLE_1)
	s_or_b32 exec_lo, exec_lo, s39
	s_and_saveexec_b32 s4, s2
	s_xor_b32 s18, exec_lo, s4
	s_cbranch_execz .LBB0_57
.LBB0_42:                               ;   in Loop: Header=BB0_10 Depth=3
	s_and_saveexec_b32 s39, s3
	s_cbranch_execz .LBB0_56
; %bb.43:                               ;   in Loop: Header=BB0_10 Depth=3
	v_add_nc_u32_e32 v4, s5, v19
	s_delay_alu instid0(VALU_DEP_1) | instskip(NEXT) | instid1(VALU_DEP_1)
	v_sub_nc_u32_e32 v0, 0, v4
	v_max_i32_e32 v0, v4, v0
	s_delay_alu instid0(VALU_DEP_1) | instskip(NEXT) | instid1(VALU_DEP_1)
	v_mul_u64_e32 v[2:3], s[30:31], v[0:1]
	v_mul_lo_u32 v2, v3, s73
	s_delay_alu instid0(VALU_DEP_1) | instskip(NEXT) | instid1(VALU_DEP_1)
	v_dual_sub_nc_u32 v0, v0, v2 :: v_dual_ashrrev_i32 v3, 31, v4
	v_subrev_nc_u32_e32 v2, s73, v0
	v_cmp_le_u32_e32 vcc_lo, s73, v0
	s_delay_alu instid0(VALU_DEP_2) | instskip(NEXT) | instid1(VALU_DEP_1)
	v_cndmask_b32_e32 v0, v0, v2, vcc_lo
	v_subrev_nc_u32_e32 v2, s73, v0
	v_cmp_le_u32_e32 vcc_lo, s73, v0
	s_delay_alu instid0(VALU_DEP_2) | instskip(SKIP_1) | instid1(VALU_DEP_1)
	v_cndmask_b32_e32 v0, v0, v2, vcc_lo
	s_and_not1_b32 vcc_lo, exec_lo, s60
	v_xor_b32_e32 v0, v0, v3
	s_delay_alu instid0(VALU_DEP_1) | instskip(NEXT) | instid1(VALU_DEP_1)
	v_sub_nc_u32_e32 v0, v0, v3
	v_add_nc_u32_e32 v4, v18, v0
	s_delay_alu instid0(VALU_DEP_1)
	v_ashrrev_i32_e32 v5, 31, v4
	s_cbranch_vccnz .LBB0_45
; %bb.44:                               ;   in Loop: Header=BB0_10 Depth=3
	s_delay_alu instid0(VALU_DEP_1)
	v_add_nc_u64_e32 v[2:3], s[26:27], v[4:5]
	global_store_b8 v[2:3], v11, off
.LBB0_45:                               ;   in Loop: Header=BB0_10 Depth=3
	s_wait_xcnt 0x0
	s_delay_alu instid0(VALU_DEP_1) | instskip(SKIP_4) | instid1(VALU_DEP_1)
	v_add_nc_u64_e32 v[2:3], s[12:13], v[4:5]
	s_mov_b32 s4, exec_lo
	global_load_u8 v20, v[2:3], off
	s_wait_loadcnt 0x0
	v_bfe_i32 v22, v20, 0, 8
	v_ashrrev_i32_e32 v23, 31, v22
	s_delay_alu instid0(VALU_DEP_1)
	v_add_nc_u64_e32 v[22:23], s[16:17], v[22:23]
	s_clause 0x1
	global_load_i8 v0, v[22:23], off
	global_load_i8 v21, v1, s[44:45]
	s_wait_loadcnt 0x0
	s_wait_xcnt 0x0
	v_cmpx_ge_i16_e64 v0, v21
	s_xor_b32 s91, exec_lo, s4
	s_cbranch_execz .LBB0_53
; %bb.46:                               ;   in Loop: Header=BB0_10 Depth=3
	v_and_b32_e32 v0, 0xff, v20
	s_and_not1_b32 vcc_lo, exec_lo, s61
	s_delay_alu instid0(VALU_DEP_1)
	v_cmp_ne_u16_e64 s4, 4, v0
	s_cbranch_vccnz .LBB0_48
; %bb.47:                               ;   in Loop: Header=BB0_10 Depth=3
	v_add_nc_u16 v4, v20, -9
	s_delay_alu instid0(VALU_DEP_1) | instskip(NEXT) | instid1(VALU_DEP_1)
	v_and_b32_e32 v4, 0xff, v4
	v_cmp_lt_u16_e32 vcc_lo, 0xfd, v4
	s_or_b32 s92, s80, vcc_lo
	s_delay_alu instid0(SALU_CYCLE_1) | instskip(NEXT) | instid1(SALU_CYCLE_1)
	s_and_b32 s4, s4, s92
	s_and_b32 s4, s4, exec_lo
	s_cbranch_execz .LBB0_49
	s_branch .LBB0_50
.LBB0_48:                               ;   in Loop: Header=BB0_10 Depth=3
	s_mov_b32 s4, 0
.LBB0_49:                               ;   in Loop: Header=BB0_10 Depth=3
	v_cmp_ne_u16_e32 vcc_lo, 4, v0
	s_and_not1_b32 s4, s4, exec_lo
	s_and_b32 s92, vcc_lo, exec_lo
	s_delay_alu instid0(SALU_CYCLE_1)
	s_or_b32 s4, s4, s92
.LBB0_50:                               ;   in Loop: Header=BB0_10 Depth=3
	s_delay_alu instid0(SALU_CYCLE_1)
	s_and_saveexec_b32 s92, s4
	s_cbranch_execz .LBB0_52
; %bb.51:                               ;   in Loop: Header=BB0_10 Depth=3
	global_store_b8 v[2:3], v9, off
.LBB0_52:                               ;   in Loop: Header=BB0_10 Depth=3
	s_wait_xcnt 0x0
	s_or_b32 exec_lo, exec_lo, s92
                                        ; implicit-def: $vgpr2_vgpr3
                                        ; implicit-def: $vgpr4_vgpr5
.LBB0_53:                               ;   in Loop: Header=BB0_10 Depth=3
	s_and_not1_saveexec_b32 s4, s91
	s_cbranch_execz .LBB0_56
; %bb.54:                               ;   in Loop: Header=BB0_10 Depth=3
	s_and_not1_b32 vcc_lo, exec_lo, s62
	global_store_b8 v[2:3], v15, off
	s_cbranch_vccnz .LBB0_56
; %bb.55:                               ;   in Loop: Header=BB0_10 Depth=3
	s_wait_xcnt 0x0
	v_lshl_add_u64 v[2:3], v[4:5], 2, s[14:15]
	global_store_b32 v[2:3], v10, off
.LBB0_56:                               ;   in Loop: Header=BB0_10 Depth=3
	s_wait_xcnt 0x0
	s_or_b32 exec_lo, exec_lo, s39
.LBB0_57:                               ;   in Loop: Header=BB0_10 Depth=3
	s_or_saveexec_b32 s18, s18
	v_add_nc_u32_e32 v21, s5, v19
	s_delay_alu instid0(VALU_DEP_1)
	v_dual_ashrrev_i32 v20, 31, v21 :: v_dual_sub_nc_u32 v22, 0, v21
	s_xor_b32 exec_lo, exec_lo, s18
	s_cbranch_execz .LBB0_72
; %bb.58:                               ;   in Loop: Header=BB0_10 Depth=3
	s_delay_alu instid0(VALU_DEP_1) | instskip(NEXT) | instid1(VALU_DEP_1)
	v_max_i32_e32 v0, v21, v22
	v_mul_u64_e32 v[2:3], s[30:31], v[0:1]
	s_delay_alu instid0(VALU_DEP_1) | instskip(NEXT) | instid1(VALU_DEP_1)
	v_mul_lo_u32 v2, v3, s73
	v_sub_nc_u32_e32 v0, v0, v2
	s_delay_alu instid0(VALU_DEP_1) | instskip(SKIP_1) | instid1(VALU_DEP_2)
	v_subrev_nc_u32_e32 v2, s73, v0
	v_cmp_le_u32_e32 vcc_lo, s73, v0
	v_cndmask_b32_e32 v0, v0, v2, vcc_lo
	s_delay_alu instid0(VALU_DEP_1) | instskip(SKIP_1) | instid1(VALU_DEP_2)
	v_subrev_nc_u32_e32 v2, s73, v0
	v_cmp_le_u32_e32 vcc_lo, s73, v0
	v_cndmask_b32_e32 v0, v0, v2, vcc_lo
	s_and_not1_b32 vcc_lo, exec_lo, s63
	s_delay_alu instid0(VALU_DEP_1) | instskip(NEXT) | instid1(VALU_DEP_1)
	v_xor_b32_e32 v0, v0, v20
	v_sub_nc_u32_e32 v0, v0, v20
	s_delay_alu instid0(VALU_DEP_1) | instskip(NEXT) | instid1(VALU_DEP_1)
	v_add_nc_u32_e32 v4, v18, v0
	v_ashrrev_i32_e32 v5, 31, v4
	s_cbranch_vccnz .LBB0_60
; %bb.59:                               ;   in Loop: Header=BB0_10 Depth=3
	s_delay_alu instid0(VALU_DEP_1)
	v_add_nc_u64_e32 v[2:3], s[26:27], v[4:5]
	global_store_b8 v[2:3], v12, off
.LBB0_60:                               ;   in Loop: Header=BB0_10 Depth=3
	s_wait_xcnt 0x0
	s_delay_alu instid0(VALU_DEP_1) | instskip(SKIP_4) | instid1(VALU_DEP_1)
	v_add_nc_u64_e32 v[2:3], s[12:13], v[4:5]
	s_mov_b32 s4, exec_lo
	global_load_u8 v23, v[2:3], off
	s_wait_loadcnt 0x0
	v_bfe_i32 v24, v23, 0, 8
	v_ashrrev_i32_e32 v25, 31, v24
	s_delay_alu instid0(VALU_DEP_1)
	v_add_nc_u64_e32 v[24:25], s[16:17], v[24:25]
	s_clause 0x1
	global_load_i8 v0, v[24:25], off
	global_load_i8 v24, v1, s[46:47]
	s_wait_loadcnt 0x0
	s_wait_xcnt 0x0
	v_cmpx_ge_i16_e64 v0, v24
	s_xor_b32 s39, exec_lo, s4
	s_cbranch_execz .LBB0_68
; %bb.61:                               ;   in Loop: Header=BB0_10 Depth=3
	v_and_b32_e32 v0, 0xff, v23
	s_and_not1_b32 vcc_lo, exec_lo, s64
	s_delay_alu instid0(VALU_DEP_1)
	v_cmp_ne_u16_e64 s4, 4, v0
	s_cbranch_vccnz .LBB0_63
; %bb.62:                               ;   in Loop: Header=BB0_10 Depth=3
	v_add_nc_u16 v4, v23, -9
	s_delay_alu instid0(VALU_DEP_1) | instskip(NEXT) | instid1(VALU_DEP_1)
	v_and_b32_e32 v4, 0xff, v4
	v_cmp_lt_u16_e32 vcc_lo, 0xfd, v4
	s_or_b32 s91, s81, vcc_lo
	s_delay_alu instid0(SALU_CYCLE_1) | instskip(NEXT) | instid1(SALU_CYCLE_1)
	s_and_b32 s4, s4, s91
	s_and_b32 s4, s4, exec_lo
	s_cbranch_execz .LBB0_64
	s_branch .LBB0_65
.LBB0_63:                               ;   in Loop: Header=BB0_10 Depth=3
	s_mov_b32 s4, 0
.LBB0_64:                               ;   in Loop: Header=BB0_10 Depth=3
	v_cmp_ne_u16_e32 vcc_lo, 4, v0
	s_and_not1_b32 s4, s4, exec_lo
	s_and_b32 s91, vcc_lo, exec_lo
	s_delay_alu instid0(SALU_CYCLE_1)
	s_or_b32 s4, s4, s91
.LBB0_65:                               ;   in Loop: Header=BB0_10 Depth=3
	s_delay_alu instid0(SALU_CYCLE_1)
	s_and_saveexec_b32 s91, s4
	s_cbranch_execz .LBB0_67
; %bb.66:                               ;   in Loop: Header=BB0_10 Depth=3
	global_store_b8 v[2:3], v9, off
.LBB0_67:                               ;   in Loop: Header=BB0_10 Depth=3
	s_wait_xcnt 0x0
	s_or_b32 exec_lo, exec_lo, s91
                                        ; implicit-def: $vgpr2_vgpr3
                                        ; implicit-def: $vgpr4_vgpr5
.LBB0_68:                               ;   in Loop: Header=BB0_10 Depth=3
	s_and_not1_saveexec_b32 s4, s39
	s_cbranch_execz .LBB0_71
; %bb.69:                               ;   in Loop: Header=BB0_10 Depth=3
	v_mov_b32_e32 v0, s10
	s_and_not1_b32 vcc_lo, exec_lo, s65
	global_store_b8 v[2:3], v0, off
	s_cbranch_vccnz .LBB0_71
; %bb.70:                               ;   in Loop: Header=BB0_10 Depth=3
	s_wait_xcnt 0x0
	v_lshl_add_u64 v[2:3], v[4:5], 2, s[14:15]
	global_store_b32 v[2:3], v10, off
.LBB0_71:                               ;   in Loop: Header=BB0_10 Depth=3
	s_wait_xcnt 0x0
	s_or_b32 exec_lo, exec_lo, s4
.LBB0_72:                               ;   in Loop: Header=BB0_10 Depth=3
	s_delay_alu instid0(SALU_CYCLE_1) | instskip(NEXT) | instid1(SALU_CYCLE_1)
	s_or_b32 exec_lo, exec_lo, s18
	s_and_b32 vcc_lo, exec_lo, s11
	s_cbranch_vccz .LBB0_79
; %bb.73:                               ;   in Loop: Header=BB0_10 Depth=3
	s_and_not1_b32 vcc_lo, exec_lo, s85
	s_cbranch_vccnz .LBB0_89
; %bb.74:                               ;   in Loop: Header=BB0_10 Depth=3
	v_max_i32_e32 v0, v21, v22
	s_delay_alu instid0(VALU_DEP_1) | instskip(NEXT) | instid1(VALU_DEP_1)
	v_mul_u64_e32 v[2:3], s[30:31], v[0:1]
	v_mul_lo_u32 v2, v3, s73
	s_delay_alu instid0(VALU_DEP_1) | instskip(NEXT) | instid1(VALU_DEP_1)
	v_sub_nc_u32_e32 v0, v0, v2
	v_subrev_nc_u32_e32 v2, s73, v0
	v_cmp_le_u32_e32 vcc_lo, s73, v0
	s_delay_alu instid0(VALU_DEP_2) | instskip(NEXT) | instid1(VALU_DEP_1)
	v_cndmask_b32_e32 v0, v0, v2, vcc_lo
	v_subrev_nc_u32_e32 v2, s73, v0
	v_cmp_le_u32_e32 vcc_lo, s73, v0
	s_delay_alu instid0(VALU_DEP_2) | instskip(SKIP_1) | instid1(VALU_DEP_1)
	v_cndmask_b32_e32 v0, v0, v2, vcc_lo
	s_and_not1_b32 vcc_lo, exec_lo, s67
	v_xor_b32_e32 v0, v0, v20
	s_delay_alu instid0(VALU_DEP_1) | instskip(NEXT) | instid1(VALU_DEP_1)
	v_sub_nc_u32_e32 v0, v0, v20
	v_add_nc_u32_e32 v4, v18, v0
	s_delay_alu instid0(VALU_DEP_1)
	v_ashrrev_i32_e32 v5, 31, v4
	s_cbranch_vccnz .LBB0_76
; %bb.75:                               ;   in Loop: Header=BB0_10 Depth=3
	s_delay_alu instid0(VALU_DEP_1)
	v_add_nc_u64_e32 v[2:3], s[26:27], v[4:5]
	global_store_b8 v[2:3], v13, off
.LBB0_76:                               ;   in Loop: Header=BB0_10 Depth=3
	s_wait_xcnt 0x0
	s_delay_alu instid0(VALU_DEP_1) | instskip(SKIP_4) | instid1(VALU_DEP_1)
	v_add_nc_u64_e32 v[2:3], s[12:13], v[4:5]
	s_mov_b32 s4, exec_lo
	global_load_u8 v23, v[2:3], off
	s_wait_loadcnt 0x0
	v_bfe_i32 v24, v23, 0, 8
	v_ashrrev_i32_e32 v25, 31, v24
	s_delay_alu instid0(VALU_DEP_1)
	v_add_nc_u64_e32 v[24:25], s[16:17], v[24:25]
	s_clause 0x1
	global_load_i8 v0, v[24:25], off
	global_load_i8 v24, v1, s[48:49]
	s_wait_loadcnt 0x0
	s_wait_xcnt 0x0
	v_cmpx_ge_i16_e64 v0, v24
	s_xor_b32 s18, exec_lo, s4
	s_cbranch_execz .LBB0_85
; %bb.77:                               ;   in Loop: Header=BB0_10 Depth=3
	v_and_b32_e32 v0, 0xff, v23
	s_and_not1_b32 vcc_lo, exec_lo, s68
	s_delay_alu instid0(VALU_DEP_1)
	v_cmp_ne_u16_e64 s4, 4, v0
	s_cbranch_vccnz .LBB0_80
; %bb.78:                               ;   in Loop: Header=BB0_10 Depth=3
	v_add_nc_u16 v4, v23, -9
	s_delay_alu instid0(VALU_DEP_1) | instskip(NEXT) | instid1(VALU_DEP_1)
	v_and_b32_e32 v4, 0xff, v4
	v_cmp_lt_u16_e32 vcc_lo, 0xfd, v4
	s_or_b32 s39, s82, vcc_lo
	s_delay_alu instid0(SALU_CYCLE_1) | instskip(NEXT) | instid1(SALU_CYCLE_1)
	s_and_b32 s4, s4, s39
	s_and_b32 s4, s4, exec_lo
	s_cbranch_execz .LBB0_81
	s_branch .LBB0_82
.LBB0_79:                               ;   in Loop: Header=BB0_10 Depth=3
	s_branch .LBB0_90
.LBB0_80:                               ;   in Loop: Header=BB0_10 Depth=3
	s_mov_b32 s4, 0
.LBB0_81:                               ;   in Loop: Header=BB0_10 Depth=3
	v_cmp_ne_u16_e32 vcc_lo, 4, v0
	s_and_not1_b32 s4, s4, exec_lo
	s_and_b32 s39, vcc_lo, exec_lo
	s_delay_alu instid0(SALU_CYCLE_1)
	s_or_b32 s4, s4, s39
.LBB0_82:                               ;   in Loop: Header=BB0_10 Depth=3
	s_delay_alu instid0(SALU_CYCLE_1)
	s_and_saveexec_b32 s39, s4
	s_cbranch_execz .LBB0_84
; %bb.83:                               ;   in Loop: Header=BB0_10 Depth=3
	global_store_b8 v[2:3], v9, off
.LBB0_84:                               ;   in Loop: Header=BB0_10 Depth=3
	s_wait_xcnt 0x0
	s_or_b32 exec_lo, exec_lo, s39
                                        ; implicit-def: $vgpr2_vgpr3
                                        ; implicit-def: $vgpr4_vgpr5
.LBB0_85:                               ;   in Loop: Header=BB0_10 Depth=3
	s_and_not1_saveexec_b32 s4, s18
	s_cbranch_execz .LBB0_88
; %bb.86:                               ;   in Loop: Header=BB0_10 Depth=3
	v_mov_b32_e32 v0, s23
	s_and_not1_b32 vcc_lo, exec_lo, s69
	global_store_b8 v[2:3], v0, off
	s_cbranch_vccnz .LBB0_88
; %bb.87:                               ;   in Loop: Header=BB0_10 Depth=3
	s_wait_xcnt 0x0
	v_lshl_add_u64 v[2:3], v[4:5], 2, s[14:15]
	global_store_b32 v[2:3], v10, off
.LBB0_88:                               ;   in Loop: Header=BB0_10 Depth=3
	s_wait_xcnt 0x0
	s_or_b32 exec_lo, exec_lo, s4
.LBB0_89:                               ;   in Loop: Header=BB0_10 Depth=3
	s_cbranch_execnz .LBB0_9
.LBB0_90:                               ;   in Loop: Header=BB0_10 Depth=3
	v_max_i32_e32 v0, v21, v22
	s_delay_alu instid0(VALU_DEP_1) | instskip(NEXT) | instid1(VALU_DEP_1)
	v_mul_u64_e32 v[2:3], s[30:31], v[0:1]
	v_mul_lo_u32 v2, v3, s73
	s_delay_alu instid0(VALU_DEP_1) | instskip(NEXT) | instid1(VALU_DEP_1)
	v_sub_nc_u32_e32 v0, v0, v2
	v_subrev_nc_u32_e32 v2, s73, v0
	v_cmp_le_u32_e32 vcc_lo, s73, v0
	s_delay_alu instid0(VALU_DEP_2) | instskip(NEXT) | instid1(VALU_DEP_1)
	v_cndmask_b32_e32 v0, v0, v2, vcc_lo
	v_subrev_nc_u32_e32 v2, s73, v0
	v_cmp_le_u32_e32 vcc_lo, s73, v0
	s_delay_alu instid0(VALU_DEP_2) | instskip(SKIP_1) | instid1(VALU_DEP_1)
	v_cndmask_b32_e32 v0, v0, v2, vcc_lo
	s_and_not1_b32 vcc_lo, exec_lo, s70
	v_xor_b32_e32 v0, v0, v20
	s_delay_alu instid0(VALU_DEP_1) | instskip(NEXT) | instid1(VALU_DEP_1)
	v_sub_nc_u32_e32 v0, v0, v20
	v_add_nc_u32_e32 v4, v18, v0
	s_delay_alu instid0(VALU_DEP_1)
	v_ashrrev_i32_e32 v5, 31, v4
	s_cbranch_vccnz .LBB0_92
; %bb.91:                               ;   in Loop: Header=BB0_10 Depth=3
	s_delay_alu instid0(VALU_DEP_1)
	v_add_nc_u64_e32 v[2:3], s[26:27], v[4:5]
	global_store_b8 v[2:3], v10, off
.LBB0_92:                               ;   in Loop: Header=BB0_10 Depth=3
	s_wait_xcnt 0x0
	s_delay_alu instid0(VALU_DEP_1) | instskip(SKIP_4) | instid1(VALU_DEP_1)
	v_add_nc_u64_e32 v[2:3], s[12:13], v[4:5]
	s_mov_b32 s4, exec_lo
	global_load_u8 v20, v[2:3], off
	s_wait_loadcnt 0x0
	v_bfe_i32 v22, v20, 0, 8
	v_ashrrev_i32_e32 v23, 31, v22
	s_delay_alu instid0(VALU_DEP_1)
	v_add_nc_u64_e32 v[22:23], s[16:17], v[22:23]
	s_clause 0x1
	global_load_i8 v0, v[22:23], off
	global_load_i8 v21, v1, s[50:51]
	s_wait_loadcnt 0x0
	s_wait_xcnt 0x0
	v_cmpx_ge_i16_e64 v0, v21
	s_xor_b32 s18, exec_lo, s4
	s_cbranch_execz .LBB0_100
; %bb.93:                               ;   in Loop: Header=BB0_10 Depth=3
	v_and_b32_e32 v0, 0xff, v20
	s_and_not1_b32 vcc_lo, exec_lo, s71
	s_delay_alu instid0(VALU_DEP_1)
	v_cmp_ne_u16_e64 s4, 4, v0
	s_cbranch_vccnz .LBB0_95
; %bb.94:                               ;   in Loop: Header=BB0_10 Depth=3
	v_add_nc_u16 v4, v20, -9
	s_delay_alu instid0(VALU_DEP_1) | instskip(NEXT) | instid1(VALU_DEP_1)
	v_and_b32_e32 v4, 0xff, v4
	v_cmp_lt_u16_e32 vcc_lo, 0xfd, v4
	s_or_b32 s39, s83, vcc_lo
	s_delay_alu instid0(SALU_CYCLE_1) | instskip(NEXT) | instid1(SALU_CYCLE_1)
	s_and_b32 s4, s4, s39
	s_and_b32 s4, s4, exec_lo
	s_cbranch_execz .LBB0_96
	s_branch .LBB0_97
.LBB0_95:                               ;   in Loop: Header=BB0_10 Depth=3
	s_mov_b32 s4, 0
.LBB0_96:                               ;   in Loop: Header=BB0_10 Depth=3
	v_cmp_ne_u16_e32 vcc_lo, 4, v0
	s_and_not1_b32 s4, s4, exec_lo
	s_and_b32 s39, vcc_lo, exec_lo
	s_delay_alu instid0(SALU_CYCLE_1)
	s_or_b32 s4, s4, s39
.LBB0_97:                               ;   in Loop: Header=BB0_10 Depth=3
	s_delay_alu instid0(SALU_CYCLE_1)
	s_and_saveexec_b32 s39, s4
	s_cbranch_execz .LBB0_99
; %bb.98:                               ;   in Loop: Header=BB0_10 Depth=3
	global_store_b8 v[2:3], v9, off
.LBB0_99:                               ;   in Loop: Header=BB0_10 Depth=3
	s_wait_xcnt 0x0
	s_or_b32 exec_lo, exec_lo, s39
                                        ; implicit-def: $vgpr2_vgpr3
                                        ; implicit-def: $vgpr4_vgpr5
.LBB0_100:                              ;   in Loop: Header=BB0_10 Depth=3
	s_and_not1_saveexec_b32 s4, s18
	s_cbranch_execz .LBB0_8
; %bb.101:                              ;   in Loop: Header=BB0_10 Depth=3
	v_mov_b32_e32 v0, s22
	s_and_not1_b32 vcc_lo, exec_lo, s72
	global_store_b8 v[2:3], v0, off
	s_cbranch_vccnz .LBB0_8
; %bb.102:                              ;   in Loop: Header=BB0_10 Depth=3
	s_wait_xcnt 0x0
	v_lshl_add_u64 v[2:3], v[4:5], 2, s[14:15]
	global_store_b32 v[2:3], v10, off
	s_branch .LBB0_8
.LBB0_103:
	s_endpgm
	.section	.rodata,"a",@progbits
	.p2align	6, 0x0
	.amdhsa_kernel _Z9make_flagPcPiS_5BoxCU10outer_walliiii
		.amdhsa_group_segment_fixed_size 0
		.amdhsa_private_segment_fixed_size 0
		.amdhsa_kernarg_size 344
		.amdhsa_user_sgpr_count 2
		.amdhsa_user_sgpr_dispatch_ptr 0
		.amdhsa_user_sgpr_queue_ptr 0
		.amdhsa_user_sgpr_kernarg_segment_ptr 1
		.amdhsa_user_sgpr_dispatch_id 0
		.amdhsa_user_sgpr_kernarg_preload_length 0
		.amdhsa_user_sgpr_kernarg_preload_offset 0
		.amdhsa_user_sgpr_private_segment_size 0
		.amdhsa_wavefront_size32 1
		.amdhsa_uses_dynamic_stack 0
		.amdhsa_enable_private_segment 0
		.amdhsa_system_sgpr_workgroup_id_x 1
		.amdhsa_system_sgpr_workgroup_id_y 1
		.amdhsa_system_sgpr_workgroup_id_z 1
		.amdhsa_system_sgpr_workgroup_info 0
		.amdhsa_system_vgpr_workitem_id 1
		.amdhsa_next_free_vgpr 26
		.amdhsa_next_free_sgpr 94
		.amdhsa_named_barrier_count 0
		.amdhsa_reserve_vcc 1
		.amdhsa_float_round_mode_32 0
		.amdhsa_float_round_mode_16_64 0
		.amdhsa_float_denorm_mode_32 3
		.amdhsa_float_denorm_mode_16_64 3
		.amdhsa_fp16_overflow 0
		.amdhsa_memory_ordered 1
		.amdhsa_forward_progress 1
		.amdhsa_inst_pref_size 31
		.amdhsa_round_robin_scheduling 0
		.amdhsa_exception_fp_ieee_invalid_op 0
		.amdhsa_exception_fp_denorm_src 0
		.amdhsa_exception_fp_ieee_div_zero 0
		.amdhsa_exception_fp_ieee_overflow 0
		.amdhsa_exception_fp_ieee_underflow 0
		.amdhsa_exception_fp_ieee_inexact 0
		.amdhsa_exception_int_div_zero 0
	.end_amdhsa_kernel
	.text
.Lfunc_end0:
	.size	_Z9make_flagPcPiS_5BoxCU10outer_walliiii, .Lfunc_end0-_Z9make_flagPcPiS_5BoxCU10outer_walliiii
                                        ; -- End function
	.set _Z9make_flagPcPiS_5BoxCU10outer_walliiii.num_vgpr, 26
	.set _Z9make_flagPcPiS_5BoxCU10outer_walliiii.num_agpr, 0
	.set _Z9make_flagPcPiS_5BoxCU10outer_walliiii.numbered_sgpr, 94
	.set _Z9make_flagPcPiS_5BoxCU10outer_walliiii.num_named_barrier, 0
	.set _Z9make_flagPcPiS_5BoxCU10outer_walliiii.private_seg_size, 0
	.set _Z9make_flagPcPiS_5BoxCU10outer_walliiii.uses_vcc, 1
	.set _Z9make_flagPcPiS_5BoxCU10outer_walliiii.uses_flat_scratch, 0
	.set _Z9make_flagPcPiS_5BoxCU10outer_walliiii.has_dyn_sized_stack, 0
	.set _Z9make_flagPcPiS_5BoxCU10outer_walliiii.has_recursion, 0
	.set _Z9make_flagPcPiS_5BoxCU10outer_walliiii.has_indirect_call, 0
	.section	.AMDGPU.csdata,"",@progbits
; Kernel info:
; codeLenInByte = 3864
; TotalNumSgprs: 96
; NumVgprs: 26
; ScratchSize: 0
; MemoryBound: 0
; FloatMode: 240
; IeeeMode: 1
; LDSByteSize: 0 bytes/workgroup (compile time only)
; SGPRBlocks: 0
; VGPRBlocks: 1
; NumSGPRsForWavesPerEU: 96
; NumVGPRsForWavesPerEU: 26
; NamedBarCnt: 0
; Occupancy: 16
; WaveLimiterHint : 0
; COMPUTE_PGM_RSRC2:SCRATCH_EN: 0
; COMPUTE_PGM_RSRC2:USER_SGPR: 2
; COMPUTE_PGM_RSRC2:TRAP_HANDLER: 0
; COMPUTE_PGM_RSRC2:TGID_X_EN: 1
; COMPUTE_PGM_RSRC2:TGID_Y_EN: 1
; COMPUTE_PGM_RSRC2:TGID_Z_EN: 1
; COMPUTE_PGM_RSRC2:TIDIG_COMP_CNT: 1
	.section	.text._Z9find_wallILi19EEvPcS0_Pi5BoxCUi,"axG",@progbits,_Z9find_wallILi19EEvPcS0_Pi5BoxCUi,comdat
	.protected	_Z9find_wallILi19EEvPcS0_Pi5BoxCUi ; -- Begin function _Z9find_wallILi19EEvPcS0_Pi5BoxCUi
	.globl	_Z9find_wallILi19EEvPcS0_Pi5BoxCUi
	.p2align	8
	.type	_Z9find_wallILi19EEvPcS0_Pi5BoxCUi,@function
_Z9find_wallILi19EEvPcS0_Pi5BoxCUi:     ; @_Z9find_wallILi19EEvPcS0_Pi5BoxCUi
; %bb.0:
	s_load_b32 s20, s[0:1], 0x2c
	s_bfe_u32 s2, ttmp6, 0x40014
	s_lshr_b32 s3, ttmp7, 16
	s_add_co_i32 s2, s2, 1
	s_bfe_u32 s5, ttmp6, 0x40008
	s_mul_i32 s4, s3, s2
	s_getreg_b32 s2, hwreg(HW_REG_IB_STS2, 6, 4)
	s_add_co_i32 s5, s5, s4
	s_cmp_eq_u32 s2, 0
	s_cselect_b32 s21, s3, s5
	s_mov_b32 s3, 0
	s_wait_kmcnt 0x0
	s_cmp_ge_i32 s21, s20
	s_cbranch_scc1 .LBB1_118
; %bb.1:
	v_dual_mov_b32 v1, 0 :: v_dual_mov_b32 v13, 3
	s_get_pc_i64 s[4:5]
	s_add_nc_u64 s[4:5], s[4:5], C_dirs@rel64+7
	s_get_pc_i64 s[6:7]
	s_add_nc_u64 s[6:7], s[6:7], C_dirs@rel64+35
	;; [unrolled: 2-line block ×3, first 2 shown]
	global_load_b128 v[2:5], v1, s[4:5]
	s_wait_xcnt 0x0
	s_get_pc_i64 s[4:5]
	s_add_nc_u64 s[4:5], s[4:5], C_dirs@rel64+31
	s_get_pc_i64 s[10:11]
	s_add_nc_u64 s[10:11], s[10:11], C_dirs@rel64+50
	s_clause 0x1
	global_load_u16 v15, v1, s[6:7]
	global_load_b64 v[6:7], v1, s[8:9]
	s_wait_xcnt 0x1
	s_get_pc_i64 s[6:7]
	s_add_nc_u64 s[6:7], s[6:7], C_dirs@rel64+38
	global_load_b32 v16, v1, s[4:5]
	s_wait_xcnt 0x0
	s_get_pc_i64 s[4:5]
	s_add_nc_u64 s[4:5], s[4:5], C_dirs@rel64+46
	s_get_pc_i64 s[8:9]
	s_add_nc_u64 s[8:9], s[8:9], C_dirs@rel64+53
	s_clause 0x3
	global_load_u16 v17, v1, s[10:11]
	global_load_b64 v[10:11], v1, s[6:7]
	global_load_b32 v18, v1, s[4:5]
	global_load_b64 v[8:9], v1, s[8:9]
	s_add_nc_u64 s[12:13], s[0:1], 24
	s_wait_xcnt 0x1
	s_clause 0x1
	s_load_b128 s[4:7], s[0:1], 0x0
	s_load_b64 s[8:9], s[0:1], 0x10
	s_clause 0x1
	s_load_b32 s22, s[12:13], 0x4
	s_load_b32 s23, s[12:13], 0xc
	s_bfe_u32 s15, ttmp6, 0x4000c
	s_bfe_u32 s17, ttmp6, 0x40010
	s_and_b32 s16, ttmp7, 0xffff
	s_add_co_i32 s15, s15, 1
	s_add_co_i32 s17, s17, 1
	s_and_b32 s14, ttmp6, 15
	s_bfe_u32 s18, ttmp6, 0x40004
	s_wait_xcnt 0x0
	s_mul_i32 s12, ttmp9, s15
	s_mul_i32 s13, s16, s17
	s_add_co_i32 s14, s14, s12
	s_add_co_i32 s18, s18, s13
	s_cmp_eq_u32 s2, 0
	s_add_nc_u64 s[10:11], s[0:1], 56
	s_clause 0x1
	s_load_b64 s[12:13], s[0:1], 0x3c
	s_load_u16 s2, s[0:1], 0x46
	s_cselect_b32 s18, s16, s18
	s_wait_xcnt 0x0
	s_cselect_b32 s0, ttmp9, s14
	s_abs_i32 s25, s20
                                        ; implicit-def: $vgpr55 : SGPR spill to VGPR lane
	v_bfe_u32 v14, v0, 10, 10
	s_cvt_f32_u32 s14, s25
	v_and_b32_e32 v12, 0x3ff, v0
	v_writelane_b32 v55, s0, 0
	s_get_pc_i64 s[0:1]
	s_add_nc_u64 s[0:1], s[0:1], C_dirs@rel64+37
	v_rcp_iflag_f32_e32 v0, s14
	s_get_pc_i64 s[16:17]
	s_add_nc_u64 s[16:17], s[16:17], C_dirs@rel64+52
	s_wait_kmcnt 0x0
	s_abs_i32 s26, s23
	s_abs_i32 s27, s22
	s_clause 0x1
	s_load_i8 s14, s[0:1], 0x0
	s_load_i8 s28, s[16:17], 0x0
	s_wait_xcnt 0x0
	s_cvt_f32_u32 s1, s26
	s_cvt_f32_u32 s16, s27
	v_nop
	v_readfirstlane_b32 s0, v0
	s_sub_co_i32 s29, 0, s25
	v_rcp_iflag_f32_e32 v0, s1
	v_rcp_iflag_f32_e32 v19, s16
	v_mad_u32 v14, s18, s2, v14
	s_mul_f32 s0, s0, 0x4f7ffffe
	s_mul_i32 s12, s12, s2
	s_sub_co_i32 s1, 0, s26
	s_sub_co_i32 s18, 0, s27
	v_readfirstlane_b32 s2, v0
	v_readfirstlane_b32 s16, v19
	s_cvt_u32_f32 s0, s0
	s_mov_b32 s15, s3
	s_mov_b32 s17, s3
	s_mul_f32 s2, s2, 0x4f7ffffe
	s_mul_f32 s16, s16, 0x4f7ffffe
	s_mul_i32 s30, s29, s0
	s_wait_kmcnt 0x0
	s_add_co_i32 s29, s22, s14
	s_mul_hi_u32 s14, s0, s30
	s_cvt_u32_f32 s2, s2
	s_cvt_u32_f32 s30, s16
	s_add_co_i32 s16, s0, s14
	s_mov_b32 s19, s3
	s_mul_i32 s1, s1, s2
	s_mul_i32 s18, s18, s30
	s_mul_hi_u32 s0, s2, s1
	s_mul_hi_u32 s1, s30, s18
	s_add_co_i32 s14, s2, s0
	s_add_co_i32 s18, s30, s1
	;; [unrolled: 1-line block ×3, first 2 shown]
	v_cmp_gt_i32_e32 vcc_lo, s23, v14
	s_wait_loadcnt 0x7
	v_readfirstlane_b32 s0, v2
	v_readfirstlane_b32 s1, v3
	;; [unrolled: 1-line block ×4, first 2 shown]
	s_wait_loadcnt 0x6
	v_readfirstlane_b32 s42, v15
	s_wait_loadcnt 0x4
	v_bfe_i32 v0, v16, 0, 8
	v_ashrrev_i32_e32 v2, 24, v16
	v_readfirstlane_b32 s46, v7
	s_wait_loadcnt 0x1
	v_bfe_i32 v3, v18, 0, 8
	v_ashrrev_i32_e32 v4, 24, v18
	v_readfirstlane_b32 s43, v6
	v_readfirstlane_b32 s49, v17
	;; [unrolled: 1-line block ×4, first 2 shown]
	s_wait_loadcnt 0x0
	v_readfirstlane_b32 s59, v8
	v_readfirstlane_b32 s62, v9
	v_readfirstlane_b32 s48, v16
	v_readfirstlane_b32 s56, v18
	v_dual_add_nc_u32 v10, s22, v4 :: v_dual_add_nc_u32 v11, s22, v3
	v_dual_add_nc_u32 v15, s22, v2 :: v_dual_add_nc_u32 v16, s22, v0
	s_sext_i32_i8 s78, s0
	s_bfe_i32 s30, s0, 0x80010
	s_bfe_i32 s31, s0, 0x80008
	s_ashr_i32 s0, s0, 24
	s_bfe_i32 s33, s1, 0x80008
	s_sext_i32_i8 s34, s1
	s_bfe_i32 s76, s1, 0x80010
	s_ashr_i32 s35, s1, 24
	s_sext_i32_i8 s36, s2
	s_bfe_i32 s1, s2, 0x80008
	s_ashr_i32 s37, s2, 24
	s_bfe_i32 s38, s2, 0x80010
	s_sext_i32_i8 s2, s41
	s_ashr_i32 s73, s41, 24
	s_and_b32 s64, 0xffff, s42
	s_bfe_i32 s72, s43, 0x80010
	s_bfe_i32 s71, s46, 0x80008
	s_and_b32 s66, 0xffff, s49
	s_bfe_i32 s70, s51, 0x80010
	s_bfe_i32 s69, s54, 0x80008
	;; [unrolled: 1-line block ×7, first 2 shown]
	s_sext_i32_i8 s42, s43
	s_ashr_i32 s43, s43, 24
	s_sext_i32_i8 s44, s46
	s_ashr_i32 s45, s46, 24
	s_bfe_i32 s46, s46, 0x80010
	s_bfe_i32 s47, s48, 0x80010
	;; [unrolled: 1-line block ×4, first 2 shown]
	s_sext_i32_i8 s50, s51
	s_ashr_i32 s51, s51, 24
	s_sext_i32_i8 s52, s54
	s_ashr_i32 s53, s54, 24
	s_bfe_i32 s54, s54, 0x80010
	s_bfe_i32 s55, s56, 0x80010
	;; [unrolled: 1-line block ×4, first 2 shown]
	s_sext_i32_i8 s58, s59
	s_ashr_i32 s59, s59, 24
	s_sext_i32_i8 s60, s62
	s_ashr_i32 s61, s62, 24
	s_bfe_i32 s62, s62, 0x80010
	s_bfe_i32 s63, s64, 0x80008
	s_sext_i32_i8 s64, s64
	s_bfe_i32 s65, s66, 0x80008
	s_sext_i32_i8 s66, s66
	s_add_co_i32 s67, s22, s67
	s_add_co_i32 s68, s22, s68
	;; [unrolled: 1-line block ×12, first 2 shown]
	s_branch .LBB1_3
.LBB1_2:                                ;   in Loop: Header=BB1_3 Depth=1
	s_or_b32 exec_lo, exec_lo, s79
	s_add_co_i32 s21, s13, s21
	s_delay_alu instid0(SALU_CYCLE_1)
	s_cmp_ge_i32 s21, s20
	s_cbranch_scc1 .LBB1_118
.LBB1_3:                                ; =>This Loop Header: Depth=1
                                        ;     Child Loop BB1_6 Depth 2
                                        ;       Child Loop BB1_10 Depth 3
	s_and_saveexec_b32 s79, vcc_lo
	s_cbranch_execz .LBB1_2
; %bb.4:                                ;   in Loop: Header=BB1_3 Depth=1
	s_clause 0x1
	s_load_b32 s81, s[10:11], 0xc
	s_load_b32 s82, s[10:11], 0x0
	s_add_co_i32 s80, s21, s20
	v_readlane_b32 s24, v55, 0
	s_abs_i32 s2, s80
	v_mov_b32_e32 v18, v14
	s_mul_u64 s[0:1], s[2:3], s[16:17]
	s_mov_b32 s83, 0
	s_mul_i32 s0, s1, s25
	s_ashr_i32 s1, s80, 31
	s_sub_co_i32 s0, s2, s0
	s_delay_alu instid0(SALU_CYCLE_1)
	s_sub_co_i32 s2, s0, s25
	s_wait_kmcnt 0x0
	s_and_b32 s81, s81, 0xffff
	s_cmp_ge_u32 s0, s25
	v_mad_u32 v17, s24, s81, v12
	s_cselect_b32 s0, s2, s0
	s_mul_i32 s81, s82, s81
	s_sub_co_i32 s2, s0, s25
	s_cmp_ge_u32 s0, s25
	s_cselect_b32 s0, s2, s0
	s_delay_alu instid0(SALU_CYCLE_1) | instskip(NEXT) | instid1(SALU_CYCLE_1)
	s_xor_b32 s0, s0, s1
	s_sub_co_i32 s1, s0, s1
	s_delay_alu instid0(VALU_DEP_1)
	v_cmp_gt_i32_e64 s0, s22, v17
	s_mul_i32 s82, s1, s23
	s_branch .LBB1_6
.LBB1_5:                                ;   in Loop: Header=BB1_6 Depth=2
	s_or_b32 exec_lo, exec_lo, s84
	v_add_nc_u32_e32 v18, s12, v18
	s_delay_alu instid0(VALU_DEP_1) | instskip(SKIP_1) | instid1(SALU_CYCLE_1)
	v_cmp_le_i32_e64 s1, s23, v18
	s_or_b32 s83, s1, s83
	s_and_not1_b32 exec_lo, exec_lo, s83
	s_cbranch_execz .LBB1_2
.LBB1_6:                                ;   Parent Loop BB1_3 Depth=1
                                        ; =>  This Loop Header: Depth=2
                                        ;       Child Loop BB1_10 Depth 3
	s_and_saveexec_b32 s84, s0
	s_cbranch_execz .LBB1_5
; %bb.7:                                ;   in Loop: Header=BB1_6 Depth=2
	v_add_nc_u32_e32 v20, s23, v18
	s_add_co_i32 s92, s80, s30
	s_add_co_i32 s95, s80, s33
	s_abs_i32 s2, s92
	s_add_co_i32 s96, s80, s36
	v_dual_sub_nc_u32 v0, 0, v20 :: v_dual_add_nc_u32 v22, s31, v20
	s_mul_u64 s[102:103], s[2:3], s[16:17]
	s_add_co_i32 s101, s80, s37
	s_mul_i32 s98, s103, s25
	s_delay_alu instid0(VALU_DEP_1)
	v_max_i32_e32 v0, v20, v0
	s_sub_co_i32 s2, s2, s98
	s_add_co_i32 s104, s80, s39
	s_add_co_i32 s99, s80, s41
	;; [unrolled: 1-line block ×3, first 2 shown]
	v_mul_u64_e32 v[2:3], s[14:15], v[0:1]
	s_add_co_i32 s100, s80, s45
	s_add_co_i32 s97, s80, s47
	;; [unrolled: 1-line block ×11, first 2 shown]
	s_ashr_i32 s92, s92, 31
	s_sub_co_i32 s98, s2, s25
	s_cmp_ge_u32 s2, s25
	s_cselect_b32 s2, s98, s2
	s_delay_alu instid0(SALU_CYCLE_1)
	s_sub_co_i32 s98, s2, s25
	s_cmp_ge_u32 s2, s25
	s_cselect_b32 s98, s98, s2
	s_abs_i32 s2, s95
	s_xor_b32 s98, s98, s92
	s_mul_u64 s[102:103], s[2:3], s[16:17]
	s_ashr_i32 s95, s95, 31
	s_mul_i32 s102, s103, s25
	s_sub_co_i32 s98, s98, s92
	s_sub_co_i32 s2, s2, s102
	s_delay_alu instid0(SALU_CYCLE_1) | instskip(SKIP_1) | instid1(VALU_DEP_1)
	s_sub_co_i32 s92, s2, s25
	s_cmp_ge_u32 s2, s25
	v_mul_lo_u32 v2, v3, s26
	v_sub_nc_u32_e32 v3, 0, v22
	s_cselect_b32 s2, s92, s2
	s_delay_alu instid0(SALU_CYCLE_1)
	s_sub_co_i32 s92, s2, s25
	s_cmp_ge_u32 s2, s25
	s_cselect_b32 s92, s92, s2
	s_abs_i32 s2, s96
	s_xor_b32 s92, s92, s95
	s_mul_u64 s[102:103], s[2:3], s[16:17]
	s_delay_alu instid0(VALU_DEP_2) | instskip(SKIP_3) | instid1(VALU_DEP_4)
	v_dual_sub_nc_u32 v9, v0, v2 :: v_dual_max_i32 v0, v22, v3
	v_dual_add_nc_u32 v26, s34, v20 :: v_dual_add_nc_u32 v29, s38, v20
	v_dual_add_nc_u32 v30, s40, v20 :: v_dual_add_nc_u32 v31, s42, v20
	v_add_nc_u32_e32 v34, s43, v20
	v_mul_u64_e32 v[2:3], s[14:15], v[0:1]
	v_dual_add_nc_u32 v36, s46, v20 :: v_dual_add_nc_u32 v37, s48, v20
	v_dual_add_nc_u32 v41, s50, v20 :: v_dual_add_nc_u32 v45, s51, v20
	;; [unrolled: 1-line block ×3, first 2 shown]
	s_mul_i32 s102, s103, s25
	s_ashr_i32 s96, s96, 31
	s_sub_co_i32 s2, s2, s102
	s_sub_co_i32 s95, s92, s95
	;; [unrolled: 1-line block ×3, first 2 shown]
	s_cmp_ge_u32 s2, s25
	v_subrev_nc_u32_e32 v47, s26, v9
	s_cselect_b32 s2, s92, s2
	v_add_nc_u32_e32 v28, s35, v20
	s_sub_co_i32 s92, s2, s25
	s_cmp_ge_u32 s2, s25
	v_dual_sub_nc_u32 v21, 0, v37 :: v_dual_sub_nc_u32 v19, 0, v36
	s_cselect_b32 s92, s92, s2
	s_abs_i32 s2, s101
	s_xor_b32 s92, s92, s96
	s_mul_u64 s[102:103], s[2:3], s[16:17]
	s_ashr_i32 s101, s101, 31
	s_mul_i32 s102, s103, s25
	s_sub_co_i32 s96, s92, s96
	s_sub_co_i32 s2, s2, s102
	v_add_nc_u32_e32 v39, s64, v20
	s_sub_co_i32 s92, s2, s25
	s_cmp_ge_u32 s2, s25
	v_ashrrev_i32_e32 v44, 31, v20
	v_mul_lo_u32 v2, v3, s26
	v_sub_nc_u32_e32 v3, 0, v26
	s_cselect_b32 s2, s92, s2
	v_add_nc_u32_e32 v27, s62, v20
	s_sub_co_i32 s92, s2, s25
	s_cmp_ge_u32 s2, s25
	v_ashrrev_i32_e32 v35, 31, v34
	s_cselect_b32 s92, s92, s2
	s_abs_i32 s2, s104
	s_xor_b32 s92, s92, s101
	s_mul_u64 s[102:103], s[2:3], s[16:17]
	v_dual_sub_nc_u32 v5, v0, v2 :: v_dual_max_i32 v0, v26, v3
	s_mul_i32 s102, s103, s25
	s_ashr_i32 s104, s104, 31
	s_sub_co_i32 s2, s2, s102
	s_sub_co_i32 s92, s92, s101
	v_mul_u64_e32 v[2:3], s[14:15], v[0:1]
	s_sub_co_i32 s101, s2, s25
	s_cmp_ge_u32 s2, s25
	s_cselect_b32 s2, s101, s2
	s_delay_alu instid0(SALU_CYCLE_1)
	s_sub_co_i32 s101, s2, s25
	s_cmp_ge_u32 s2, s25
	s_cselect_b32 s101, s101, s2
	s_abs_i32 s2, s99
	s_ashr_i32 vcc_hi, s99, 31
	s_mul_u64 s[102:103], s[2:3], s[16:17]
	s_xor_b32 s101, s101, s104
	s_mul_i32 s99, s103, s25
	s_delay_alu instid0(SALU_CYCLE_1) | instskip(SKIP_4) | instid1(SALU_CYCLE_1)
	s_sub_co_i32 s2, s2, s99
	s_sub_co_i32 s99, s101, s104
	;; [unrolled: 1-line block ×3, first 2 shown]
	s_cmp_ge_u32 s2, s25
	s_cselect_b32 s2, s101, s2
	s_sub_co_i32 s101, s2, s25
	s_cmp_ge_u32 s2, s25
	s_cselect_b32 s101, s101, s2
	s_abs_i32 s2, s1
	s_ashr_i32 s104, s1, 31
	s_mul_u64 s[102:103], s[2:3], s[16:17]
	s_xor_b32 s101, s101, vcc_hi
	s_mul_i32 s1, s103, s25
	s_delay_alu instid0(VALU_DEP_1)
	v_mul_lo_u32 v2, v3, s26
	v_sub_nc_u32_e32 v4, 0, v28
	s_sub_co_i32 s1, s2, s1
	s_sub_co_i32 s101, s101, vcc_hi
	s_sub_co_i32 s2, s1, s25
	s_cmp_ge_u32 s1, s25
	s_cselect_b32 s1, s2, s1
	s_delay_alu instid0(SALU_CYCLE_1) | instskip(SKIP_1) | instid1(VALU_DEP_2)
	s_sub_co_i32 s2, s1, s25
	s_cmp_ge_u32 s1, s25
	v_sub_nc_u32_e32 v3, v0, v2
	v_dual_sub_nc_u32 v4, 0, v29 :: v_dual_max_i32 v0, v28, v4
	s_cselect_b32 vcc_hi, s2, s1
	v_cmp_le_u32_e64 s1, s26, v9
	s_abs_i32 s2, s100
	v_mul_u64_e32 v[6:7], s[14:15], v[0:1]
	s_mul_u64 s[102:103], s[2:3], s[16:17]
	s_ashr_i32 s24, s100, 31
	s_xor_b32 s100, vcc_hi, s104
	s_delay_alu instid0(SALU_CYCLE_1) | instskip(NEXT) | instid1(VALU_DEP_1)
	s_sub_co_i32 s100, s100, s104
	v_mul_lo_u32 v2, v7, s26
	s_delay_alu instid0(VALU_DEP_1) | instskip(SKIP_2) | instid1(VALU_DEP_2)
	v_dual_sub_nc_u32 v7, 0, v31 :: v_dual_sub_nc_u32 v6, v0, v2
	v_dual_sub_nc_u32 v4, 0, v30 :: v_dual_max_i32 v0, v29, v4
	v_dual_ashrrev_i32 v38, 31, v26 :: v_dual_ashrrev_i32 v26, 31, v31
	v_mul_u64_e32 v[24:25], s[14:15], v[0:1]
	s_delay_alu instid0(VALU_DEP_1) | instskip(NEXT) | instid1(VALU_DEP_1)
	v_mul_lo_u32 v2, v25, s26
	v_dual_sub_nc_u32 v2, v0, v2 :: v_dual_max_i32 v0, v30, v4
	s_delay_alu instid0(VALU_DEP_1) | instskip(NEXT) | instid1(VALU_DEP_1)
	v_mul_u64_e32 v[24:25], s[14:15], v[0:1]
	v_mul_lo_u32 v4, v25, s26
	s_delay_alu instid0(VALU_DEP_1) | instskip(SKIP_1) | instid1(VALU_DEP_2)
	v_dual_sub_nc_u32 v4, v0, v4 :: v_dual_max_i32 v0, v31, v7
	v_ashrrev_i32_e32 v31, 31, v39
	v_mul_u64_e32 v[24:25], s[14:15], v[0:1]
	s_delay_alu instid0(VALU_DEP_1) | instskip(NEXT) | instid1(VALU_DEP_1)
	v_mul_lo_u32 v7, v25, s26
	v_dual_sub_nc_u32 v8, 0, v34 :: v_dual_sub_nc_u32 v7, v0, v7
	s_delay_alu instid0(VALU_DEP_1) | instskip(SKIP_1) | instid1(VALU_DEP_2)
	v_max_i32_e32 v0, v34, v8
	v_ashrrev_i32_e32 v34, 31, v36
	v_mul_u64_e32 v[24:25], s[14:15], v[0:1]
	s_delay_alu instid0(VALU_DEP_1) | instskip(NEXT) | instid1(VALU_DEP_1)
	v_mul_lo_u32 v8, v25, s26
	v_sub_nc_u32_e32 v8, v0, v8
	v_dual_ashrrev_i32 v36, 31, v45 :: v_dual_max_i32 v0, v36, v19
	s_delay_alu instid0(VALU_DEP_1) | instskip(NEXT) | instid1(VALU_DEP_1)
	v_mul_u64_e32 v[24:25], s[14:15], v[0:1]
	v_mul_lo_u32 v19, v25, s26
	s_delay_alu instid0(VALU_DEP_1) | instskip(SKIP_1) | instid1(VALU_DEP_2)
	v_dual_sub_nc_u32 v23, v0, v19 :: v_dual_max_i32 v0, v37, v21
	v_sub_nc_u32_e32 v21, 0, v39
	v_mul_u64_e32 v[24:25], s[14:15], v[0:1]
	s_delay_alu instid0(VALU_DEP_1) | instskip(NEXT) | instid1(VALU_DEP_1)
	v_mul_lo_u32 v19, v25, s26
	v_dual_add_nc_u32 v25, s59, v20 :: v_dual_sub_nc_u32 v24, v0, v19
	s_delay_alu instid0(VALU_DEP_4) | instskip(SKIP_2) | instid1(VALU_DEP_3)
	v_dual_add_nc_u32 v19, s56, v20 :: v_dual_max_i32 v0, v39, v21
	v_dual_add_nc_u32 v21, s58, v20 :: v_dual_ashrrev_i32 v20, 31, v22
	v_ashrrev_i32_e32 v22, 31, v28
	v_mul_u64_e32 v[32:33], s[14:15], v[0:1]
	v_dual_ashrrev_i32 v32, 31, v29 :: v_dual_ashrrev_i32 v28, 31, v30
	v_dual_sub_nc_u32 v30, 0, v41 :: v_dual_ashrrev_i32 v39, 31, v19
	v_dual_sub_nc_u32 v52, 0, v19 :: v_dual_sub_nc_u32 v50, 0, v46
	v_dual_sub_nc_u32 v54, 0, v21 :: v_dual_sub_nc_u32 v53, 0, v40
	v_mul_lo_u32 v29, v33, s26
	s_delay_alu instid0(VALU_DEP_1) | instskip(SKIP_3) | instid1(VALU_DEP_4)
	v_dual_sub_nc_u32 v33, v0, v29 :: v_dual_max_i32 v0, v41, v30
	v_ashrrev_i32_e32 v29, 31, v41
	v_sub_nc_u32_e32 v41, 0, v45
	v_dual_ashrrev_i32 v30, 31, v37 :: v_dual_ashrrev_i32 v37, 31, v46
	v_mul_u64_e32 v[42:43], s[14:15], v[0:1]
	s_delay_alu instid0(VALU_DEP_1) | instskip(NEXT) | instid1(VALU_DEP_1)
	v_mul_lo_u32 v42, v43, s26
	v_dual_ashrrev_i32 v43, 31, v21 :: v_dual_sub_nc_u32 v42, v0, v42
	v_max_i32_e32 v0, v45, v41
	v_cndmask_b32_e64 v51, v9, v47, s1
	s_mul_i32 s1, s103, s25
	v_ashrrev_i32_e32 v9, 31, v27
	s_sub_co_i32 s1, s2, s1
	v_mul_u64_e32 v[48:49], s[14:15], v[0:1]
	s_sub_co_i32 s2, s1, s25
	s_cmp_ge_u32 s1, s25
	v_ashrrev_i32_e32 v41, 31, v40
	s_cselect_b32 s2, s2, s1
	v_dual_ashrrev_i32 v45, 31, v25 :: v_dual_sub_nc_u32 v48, 0, v25
	s_sub_co_i32 s102, s2, s25
	s_cmp_ge_u32 s2, s25
	s_delay_alu instid0(VALU_DEP_3) | instskip(NEXT) | instid1(VALU_DEP_1)
	v_mul_lo_u32 v47, v49, s26
	v_sub_nc_u32_e32 v47, v0, v47
	v_subrev_nc_u32_e32 v49, s26, v51
	v_max_i32_e32 v0, v46, v50
	v_cmp_le_u32_e64 s1, s26, v51
	s_delay_alu instid0(VALU_DEP_1)
	v_dual_cndmask_b32 v46, v51, v49, s1 :: v_dual_sub_nc_u32 v49, 0, v27
	s_cselect_b32 s1, s102, s2
	s_abs_i32 s2, s97
	v_mul_u64_e32 v[50:51], s[14:15], v[0:1]
	s_mul_u64 s[102:103], s[2:3], s[16:17]
	s_ashr_i32 s104, s97, 31
	s_mul_i32 s97, s103, s25
	s_xor_b32 s1, s1, s24
	s_sub_co_i32 s2, s2, s97
	s_sub_co_i32 s97, s1, s24
	;; [unrolled: 1-line block ×3, first 2 shown]
	s_cmp_ge_u32 s2, s25
	v_xor_b32_e32 v46, v46, v44
	s_cselect_b32 s1, s1, s2
	s_delay_alu instid0(SALU_CYCLE_1)
	s_sub_co_i32 s2, s1, s25
	s_cmp_ge_u32 s1, s25
	s_cselect_b32 s1, s2, s1
	s_abs_i32 s2, s94
	s_ashr_i32 s24, s94, 31
	s_mul_u64 s[102:103], s[2:3], s[16:17]
	s_xor_b32 s1, s1, s104
	s_mul_i32 s94, s103, s25
	s_delay_alu instid0(SALU_CYCLE_1)
	s_sub_co_i32 s2, s2, s94
	s_sub_co_i32 s94, s1, s104
	;; [unrolled: 1-line block ×3, first 2 shown]
	s_cmp_ge_u32 s2, s25
	s_cselect_b32 s2, s1, s2
	v_cmp_le_u32_e64 s1, s26, v5
	v_sub_nc_u32_e32 v44, v46, v44
	v_subrev_nc_u32_e32 v46, s26, v5
	s_delay_alu instid0(VALU_DEP_1)
	v_cndmask_b32_e64 v5, v5, v46, s1
	v_mul_lo_u32 v46, v51, s26
	s_sub_co_i32 s1, s2, s25
	s_cmp_ge_u32 s2, s25
	v_add_nc_u32_e32 v44, s82, v44
	s_cselect_b32 s1, s1, s2
	s_abs_i32 s2, s93
	s_ashr_i32 s104, s93, 31
	s_mul_u64 s[102:103], s[2:3], s[16:17]
	s_xor_b32 s1, s1, s24
	s_mul_i32 s93, s103, s25
	v_subrev_nc_u32_e32 v50, s26, v5
	s_sub_co_i32 s2, s2, s93
	s_sub_co_i32 s93, s1, s24
	v_dual_sub_nc_u32 v46, v0, v46 :: v_dual_max_i32 v0, v19, v52
	v_cmp_le_u32_e64 s1, s26, v5
	s_sub_co_i32 s24, s2, s25
	s_cmp_ge_u32 s2, s25
	v_mul_lo_u32 v19, v44, s22
	v_cndmask_b32_e64 v5, v5, v50, s1
	v_mul_u64_e32 v[50:51], s[14:15], v[0:1]
	s_cselect_b32 s1, s24, s2
	v_subrev_nc_u32_e32 v50, s26, v6
	s_sub_co_i32 s2, s1, s25
	s_cmp_ge_u32 s1, s25
	v_xor_b32_e32 v5, v5, v20
	s_cselect_b32 s1, s2, s1
	s_abs_i32 s2, s91
	s_ashr_i32 s24, s91, 31
	s_mul_u64 s[102:103], s[2:3], s[16:17]
	s_xor_b32 s1, s1, s104
	s_mul_i32 s91, s103, s25
	v_sub_nc_u32_e32 v5, v5, v20
	s_sub_co_i32 s2, s2, s91
	s_sub_co_i32 s91, s1, s104
	;; [unrolled: 1-line block ×3, first 2 shown]
	s_cmp_ge_u32 s2, s25
	v_subrev_nc_u32_e32 v20, s26, v3
	s_cselect_b32 s1, s1, s2
	s_delay_alu instid0(SALU_CYCLE_1) | instskip(SKIP_2) | instid1(VALU_DEP_1)
	s_sub_co_i32 s2, s1, s25
	s_cmp_ge_u32 s1, s25
	v_mul_lo_u32 v44, v51, s26
	v_sub_nc_u32_e32 v44, v0, v44
	v_max_i32_e32 v0, v40, v53
	v_mad_u32 v5, s98, s23, v5
	s_cselect_b32 s98, s2, s1
	v_cmp_le_u32_e64 s1, s26, v3
	s_abs_i32 s2, s90
	s_xor_b32 s98, s98, s24
	s_mul_u64 s[102:103], s[2:3], s[16:17]
	s_ashr_i32 s90, s90, 31
	v_cndmask_b32_e64 v3, v3, v20, s1
	s_mul_i32 s1, s103, s25
	s_sub_co_i32 s24, s98, s24
	s_sub_co_i32 s1, s2, s1
	v_mul_lo_u32 v20, v5, s22
	s_sub_co_i32 s2, s1, s25
	s_cmp_ge_u32 s1, s25
	v_subrev_nc_u32_e32 v5, s26, v3
	s_cselect_b32 s1, s2, s1
	s_delay_alu instid0(SALU_CYCLE_1)
	s_sub_co_i32 s2, s1, s25
	s_cmp_ge_u32 s1, s25
	s_cselect_b32 s98, s2, s1
	v_cmp_le_u32_e64 s1, s26, v6
	s_abs_i32 s2, s89
	s_ashr_i32 s104, s89, 31
	s_mul_u64 s[102:103], s[2:3], s[16:17]
	s_xor_b32 s89, s98, s90
	v_cndmask_b32_e64 v6, v6, v50, s1
	s_mul_i32 s1, s103, s25
	v_mul_u64_e32 v[50:51], s[14:15], v[0:1]
	s_sub_co_i32 s2, s2, s1
	v_cmp_le_u32_e64 s1, s26, v3
	s_sub_co_i32 s90, s89, s90
	s_sub_co_i32 s89, s2, s25
	s_cmp_ge_u32 s2, s25
	v_cndmask_b32_e64 v3, v3, v5, s1
	s_cselect_b32 s1, s89, s2
	v_subrev_nc_u32_e32 v5, s26, v6
	s_sub_co_i32 s2, s1, s25
	s_cmp_ge_u32 s1, s25
	s_cselect_b32 s89, s2, s1
	v_cmp_le_u32_e64 s1, s26, v6
	s_abs_i32 s2, s88
	v_xor_b32_e32 v3, v3, v38
	s_mul_u64 s[102:103], s[2:3], s[16:17]
	s_xor_b32 s89, s89, s104
	v_cndmask_b32_e64 v5, v6, v5, s1
	s_ashr_i32 s1, s88, 31
	s_mul_i32 s88, s103, s25
	s_sub_co_i32 s98, s89, s104
	s_sub_co_i32 s2, s2, s88
	v_sub_nc_u32_e32 v3, v3, v38
	s_sub_co_i32 s88, s2, s25
	s_cmp_ge_u32 s2, s25
	v_xor_b32_e32 v5, v5, v22
	s_cselect_b32 s2, s88, s2
	v_mad_u32 v3, s95, s23, v3
	s_sub_co_i32 s88, s2, s25
	s_cmp_ge_u32 s2, s25
	v_mul_lo_u32 v6, v51, s26
	s_cselect_b32 s95, s88, s2
	s_abs_i32 s2, s87
	v_sub_nc_u32_e32 v5, v5, v22
	s_mul_u64 s[88:89], s[2:3], s[16:17]
	s_ashr_i32 s88, s87, 31
	s_mul_i32 s87, s89, s25
	s_xor_b32 s89, s95, s1
	s_sub_co_i32 s2, s2, s87
	s_sub_co_i32 s89, s89, s1
	;; [unrolled: 1-line block ×3, first 2 shown]
	s_cmp_ge_u32 s2, s25
	v_sub_nc_u32_e32 v6, v0, v6
	s_cselect_b32 s1, s1, s2
	v_max_i32_e32 v0, v21, v54
	s_sub_co_i32 s2, s1, s25
	s_cmp_ge_u32 s1, s25
	v_mul_lo_u32 v21, v3, s22
	v_mad_u32 v3, s96, s23, v5
	v_subrev_nc_u32_e32 v5, s26, v2
	s_cselect_b32 s95, s2, s1
	v_cmp_le_u32_e64 s1, s26, v2
	s_abs_i32 s2, s86
	s_ashr_i32 s96, s86, 31
	s_mul_u64 s[86:87], s[2:3], s[16:17]
	v_cndmask_b32_e64 v2, v2, v5, s1
	s_xor_b32 s1, s95, s88
	s_mul_i32 s86, s87, s25
	s_sub_co_i32 s88, s1, s88
	s_sub_co_i32 s1, s2, s86
	v_subrev_nc_u32_e32 v5, s26, v2
	s_sub_co_i32 s2, s1, s25
	s_cmp_ge_u32 s1, s25
	v_mul_lo_u32 v22, v3, s22
	s_cselect_b32 s2, s2, s1
	v_cmp_le_u32_e64 s1, s26, v2
	v_subrev_nc_u32_e32 v3, s26, v4
	s_sub_co_i32 s86, s2, s25
	s_cmp_ge_u32 s2, s25
	v_cndmask_b32_e64 v2, v2, v5, s1
	v_cmp_le_u32_e64 s1, s26, v4
	v_subrev_nc_u32_e32 v5, s26, v7
	s_delay_alu instid0(VALU_DEP_2)
	v_dual_cndmask_b32 v3, v4, v3, s1 :: v_dual_bitop2_b32 v2, v2, v32 bitop3:0x14
	s_cselect_b32 s1, s86, s2
	s_abs_i32 s2, s85
	s_xor_b32 s95, s1, s96
	s_mul_u64 s[86:87], s[2:3], s[16:17]
	v_subrev_nc_u32_e32 v4, s26, v3
	v_cmp_le_u32_e64 s1, s26, v3
	s_mul_i32 s87, s87, s25
	s_sub_co_i32 s86, s95, s96
	s_sub_co_i32 s2, s2, s87
	v_cndmask_b32_e64 v3, v3, v4, s1
	v_mul_u64_e32 v[50:51], s[14:15], v[0:1]
	v_cmp_le_u32_e64 s1, s26, v7
	s_delay_alu instid0(VALU_DEP_1) | instskip(NEXT) | instid1(VALU_DEP_1)
	v_dual_cndmask_b32 v4, v7, v5, s1 :: v_dual_sub_nc_u32 v5, v2, v32
	v_subrev_nc_u32_e32 v2, s26, v4
	v_cmp_le_u32_e64 s1, s26, v4
	s_delay_alu instid0(VALU_DEP_3) | instskip(NEXT) | instid1(VALU_DEP_2)
	v_mad_u32 v5, s92, s23, v5
	v_cndmask_b32_e64 v4, v4, v2, s1
	v_cmp_le_u32_e64 s1, s26, v8
	v_mul_lo_u32 v38, v51, s26
	v_xor_b32_e32 v7, v3, v28
	v_subrev_nc_u32_e32 v3, s26, v8
	s_delay_alu instid0(VALU_DEP_3) | instskip(NEXT) | instid1(VALU_DEP_2)
	v_dual_sub_nc_u32 v32, v0, v38 :: v_dual_max_i32 v0, v25, v48
	v_dual_cndmask_b32 v8, v8, v3, s1 :: v_dual_sub_nc_u32 v7, v7, v28
	v_cmp_le_u32_e64 s1, s26, v23
	v_subrev_nc_u32_e32 v28, s26, v47
	s_delay_alu instid0(VALU_DEP_4) | instskip(SKIP_3) | instid1(VALU_DEP_3)
	v_mul_u64_e32 v[2:3], s[14:15], v[0:1]
	v_subrev_nc_u32_e32 v2, s26, v23
	v_subrev_nc_u32_e32 v25, s26, v8
	v_mad_u32 v7, s99, s23, v7
	v_dual_mov_b32 v38, v17 :: v_dual_cndmask_b32 v2, v23, v2, s1
	v_cmp_le_u32_e64 s1, s26, v8
	s_delay_alu instid0(VALU_DEP_1) | instskip(NEXT) | instid1(VALU_DEP_3)
	v_cndmask_b32_e64 v8, v8, v25, s1
	v_subrev_nc_u32_e32 v23, s26, v2
	v_cmp_le_u32_e64 s1, s26, v2
	v_xor_b32_e32 v4, v4, v26
	v_subrev_nc_u32_e32 v25, s26, v24
	s_delay_alu instid0(VALU_DEP_3) | instskip(SKIP_1) | instid1(VALU_DEP_4)
	v_cndmask_b32_e64 v2, v2, v23, s1
	v_cmp_le_u32_e64 s1, s26, v24
	v_sub_nc_u32_e32 v4, v4, v26
	v_mul_lo_u32 v23, v5, s22
	s_delay_alu instid0(VALU_DEP_3) | instskip(SKIP_1) | instid1(VALU_DEP_2)
	v_dual_cndmask_b32 v26, v24, v25, s1 :: v_dual_bitop2_b32 v2, v2, v34 bitop3:0x14
	v_mul_lo_u32 v24, v7, s22
	v_dual_sub_nc_u32 v2, v2, v34 :: v_dual_bitop2_b32 v8, v8, v35 bitop3:0x14
	s_delay_alu instid0(VALU_DEP_3) | instskip(SKIP_2) | instid1(VALU_DEP_2)
	v_subrev_nc_u32_e32 v7, s26, v26
	v_cmp_le_u32_e64 s1, s26, v26
	v_mul_lo_u32 v3, v3, s26
	v_cndmask_b32_e64 v7, v26, v7, s1
	v_mad_u32 v4, s101, s23, v4
	v_cmp_le_u32_e64 s1, s26, v33
	s_delay_alu instid0(VALU_DEP_2) | instskip(SKIP_1) | instid1(VALU_DEP_1)
	v_mul_lo_u32 v25, v4, s22
	v_subrev_nc_u32_e32 v4, s26, v33
	v_dual_sub_nc_u32 v8, v8, v35 :: v_dual_cndmask_b32 v4, v33, v4, s1
	s_delay_alu instid0(VALU_DEP_1)
	v_mad_u32 v5, s100, s23, v8
	v_cmp_le_u32_e64 s1, s26, v42
	v_mad_u32 v8, s97, s23, v2
	v_dual_sub_nc_u32 v33, v0, v3 :: v_dual_max_i32 v0, v27, v49
	v_subrev_nc_u32_e32 v2, s26, v4
	v_mul_lo_u32 v26, v5, s22
	v_subrev_nc_u32_e32 v5, s26, v42
	s_delay_alu instid0(VALU_DEP_1) | instskip(SKIP_1) | instid1(VALU_DEP_1)
	v_dual_cndmask_b32 v5, v42, v5, s1 :: v_dual_bitop2_b32 v7, v7, v30 bitop3:0x14
	v_cmp_le_u32_e64 s1, s26, v4
	v_cndmask_b32_e64 v4, v4, v2, s1
	v_cmp_le_u32_e64 s1, s26, v47
	v_mul_u64_e32 v[2:3], s[14:15], v[0:1]
	s_delay_alu instid0(VALU_DEP_2) | instskip(SKIP_3) | instid1(VALU_DEP_4)
	v_cndmask_b32_e64 v27, v47, v28, s1
	v_subrev_nc_u32_e32 v28, s26, v5
	v_cmp_le_u32_e64 s1, s26, v5
	v_dual_sub_nc_u32 v2, v7, v30 :: v_dual_bitop2_b32 v4, v4, v31 bitop3:0x14
	v_subrev_nc_u32_e32 v7, s26, v27
	v_subrev_nc_u32_e32 v30, s26, v6
	s_delay_alu instid0(VALU_DEP_4) | instskip(SKIP_3) | instid1(VALU_DEP_3)
	v_cndmask_b32_e64 v5, v5, v28, s1
	v_cmp_le_u32_e64 s1, s26, v27
	v_subrev_nc_u32_e32 v28, s26, v46
	v_mad_u32 v2, s94, s23, v2
	v_cndmask_b32_e64 v7, v27, v7, s1
	v_cmp_le_u32_e64 s1, s26, v46
	v_dual_sub_nc_u32 v4, v4, v31 :: v_dual_bitop2_b32 v5, v5, v29 bitop3:0x14
	s_delay_alu instid0(VALU_DEP_2) | instskip(NEXT) | instid1(VALU_DEP_2)
	v_cndmask_b32_e64 v27, v46, v28, s1
	v_mad_u32 v4, s93, s23, v4
	s_delay_alu instid0(VALU_DEP_3) | instskip(SKIP_1) | instid1(VALU_DEP_4)
	v_sub_nc_u32_e32 v5, v5, v29
	v_subrev_nc_u32_e32 v29, s26, v44
	v_subrev_nc_u32_e32 v28, s26, v27
	v_cmp_le_u32_e64 s1, s26, v27
	s_delay_alu instid0(VALU_DEP_4) | instskip(SKIP_1) | instid1(VALU_DEP_3)
	v_mad_u32 v5, s91, s23, v5
	v_mul_lo_u32 v3, v3, s26
	v_cndmask_b32_e64 v27, v27, v28, s1
	v_cmp_le_u32_e64 s1, s26, v44
	s_delay_alu instid0(VALU_DEP_1) | instskip(SKIP_1) | instid1(VALU_DEP_2)
	v_dual_cndmask_b32 v28, v44, v29, s1 :: v_dual_bitop2_b32 v7, v7, v36 bitop3:0x14
	v_cmp_le_u32_e64 s1, s26, v6
	v_dual_sub_nc_u32 v7, v7, v36 :: v_dual_sub_nc_u32 v0, v0, v3
	s_delay_alu instid0(VALU_DEP_3) | instskip(NEXT) | instid1(VALU_DEP_3)
	v_subrev_nc_u32_e32 v29, s26, v28
	v_cndmask_b32_e64 v6, v6, v30, s1
	v_cmp_le_u32_e64 s1, s26, v28
	s_delay_alu instid0(VALU_DEP_4)
	v_mad_u32 v7, s24, s23, v7
	s_sub_co_i32 s24, s2, s25
	v_subrev_nc_u32_e32 v30, s26, v6
	v_cndmask_b32_e64 v28, v28, v29, s1
	v_cmp_le_u32_e64 s1, s26, v6
	v_xor_b32_e32 v27, v27, v37
	v_subrev_nc_u32_e32 v29, s26, v32
	s_delay_alu instid0(VALU_DEP_3) | instskip(NEXT) | instid1(VALU_DEP_3)
	v_dual_cndmask_b32 v6, v6, v30, s1 :: v_dual_bitop2_b32 v28, v28, v39 bitop3:0x14
	v_sub_nc_u32_e32 v27, v27, v37
	v_cmp_le_u32_e64 s1, s26, v32
	v_subrev_nc_u32_e32 v30, s26, v0
	v_mul_lo_u32 v31, v7, s22
	v_dual_sub_nc_u32 v3, v28, v39 :: v_dual_bitop2_b32 v6, v6, v41 bitop3:0x14
	v_subrev_nc_u32_e32 v28, s26, v33
	v_cndmask_b32_e64 v29, v32, v29, s1
	v_mad_u32 v32, s90, s23, v27
	s_delay_alu instid0(VALU_DEP_4) | instskip(SKIP_1) | instid1(VALU_DEP_4)
	v_sub_nc_u32_e32 v6, v6, v41
	v_mad_u32 v3, s98, s23, v3
	v_subrev_nc_u32_e32 v27, s26, v29
	v_cmp_le_u32_e64 s1, s26, v29
	s_delay_alu instid0(VALU_DEP_4) | instskip(NEXT) | instid1(VALU_DEP_2)
	v_mad_u32 v6, s89, s23, v6
	v_cndmask_b32_e64 v27, v29, v27, s1
	v_cmp_le_u32_e64 s1, s26, v33
	v_mul_lo_u32 v32, v32, s22
	s_delay_alu instid0(VALU_DEP_2) | instskip(SKIP_3) | instid1(VALU_DEP_4)
	v_cndmask_b32_e64 v28, v33, v28, s1
	v_cmp_le_u32_e64 s1, s26, v0
	v_mul_lo_u32 v33, v3, s22
	v_mul_lo_u32 v34, v6, s22
	v_subrev_nc_u32_e32 v29, s26, v28
	s_delay_alu instid0(VALU_DEP_4) | instskip(SKIP_2) | instid1(VALU_DEP_3)
	v_cndmask_b32_e64 v0, v0, v30, s1
	v_cmp_le_u32_e64 s1, s26, v28
	v_xor_b32_e32 v27, v27, v43
	v_subrev_nc_u32_e32 v30, s26, v0
	s_delay_alu instid0(VALU_DEP_3) | instskip(SKIP_1) | instid1(VALU_DEP_4)
	v_cndmask_b32_e64 v28, v28, v29, s1
	v_cmp_le_u32_e64 s1, s26, v0
	v_sub_nc_u32_e32 v27, v27, v43
	v_mul_lo_u32 v29, v4, s22
	s_delay_alu instid0(VALU_DEP_4) | instskip(NEXT) | instid1(VALU_DEP_4)
	v_xor_b32_e32 v28, v28, v45
	v_cndmask_b32_e64 v0, v0, v30, s1
	s_ashr_i32 s1, s85, 31
	s_cmp_ge_u32 s2, s25
	v_mul_lo_u32 v30, v5, s22
	s_cselect_b32 s2, s24, s2
	v_xor_b32_e32 v0, v0, v9
	s_sub_co_i32 s24, s2, s25
	s_cmp_ge_u32 s2, s25
	v_sub_nc_u32_e32 v28, v28, v45
	s_cselect_b32 s2, s24, s2
	v_sub_nc_u32_e32 v0, v0, v9
	s_xor_b32 s2, s2, s1
	v_mad_u32 v9, s88, s23, v27
	s_sub_co_i32 s1, s2, s1
	v_mad_u32 v36, s86, s23, v28
	v_mad_u32 v0, s1, s23, v0
	v_mul_lo_u32 v27, v8, s22
	v_mul_lo_u32 v28, v2, s22
	s_mov_b32 s2, 0
	v_mul_lo_u32 v35, v9, s22
	v_mul_lo_u32 v36, v36, s22
	;; [unrolled: 1-line block ×3, first 2 shown]
	s_branch .LBB1_10
.LBB1_8:                                ;   in Loop: Header=BB1_10 Depth=3
	s_wait_xcnt 0x0
	s_or_b32 exec_lo, exec_lo, s86
	global_load_u16 v0, v[2:3], off
	s_wait_loadcnt 0x0
	v_or_b32_e32 v0, 0x200, v0
	global_store_b16 v[2:3], v0, off
.LBB1_9:                                ;   in Loop: Header=BB1_10 Depth=3
	s_wait_xcnt 0x0
	s_or_b32 exec_lo, exec_lo, s85
	v_add_nc_u32_e32 v38, s81, v38
	s_delay_alu instid0(VALU_DEP_1) | instskip(SKIP_1) | instid1(SALU_CYCLE_1)
	v_cmp_le_i32_e64 s1, s22, v38
	s_or_b32 s2, s1, s2
	s_and_not1_b32 exec_lo, exec_lo, s2
	s_cbranch_execz .LBB1_5
.LBB1_10:                               ;   Parent Loop BB1_3 Depth=1
                                        ;     Parent Loop BB1_6 Depth=2
                                        ; =>    This Inner Loop Header: Depth=3
	v_add_nc_u32_e32 v4, s22, v38
	s_mov_b32 s85, exec_lo
	s_delay_alu instid0(VALU_DEP_1) | instskip(NEXT) | instid1(VALU_DEP_1)
	v_sub_nc_u32_e32 v0, 0, v4
	v_max_i32_e32 v0, v4, v0
	s_delay_alu instid0(VALU_DEP_1) | instskip(NEXT) | instid1(VALU_DEP_1)
	v_mul_u64_e32 v[2:3], s[18:19], v[0:1]
	v_mul_lo_u32 v2, v3, s27
	s_delay_alu instid0(VALU_DEP_1) | instskip(NEXT) | instid1(VALU_DEP_1)
	v_dual_ashrrev_i32 v3, 31, v4 :: v_dual_sub_nc_u32 v0, v0, v2
	v_subrev_nc_u32_e32 v2, s27, v0
	v_cmp_le_u32_e64 s1, s27, v0
	s_delay_alu instid0(VALU_DEP_1) | instskip(NEXT) | instid1(VALU_DEP_1)
	v_cndmask_b32_e64 v0, v0, v2, s1
	v_subrev_nc_u32_e32 v2, s27, v0
	v_cmp_le_u32_e64 s1, s27, v0
	s_delay_alu instid0(VALU_DEP_1) | instskip(NEXT) | instid1(VALU_DEP_1)
	v_cndmask_b32_e64 v0, v0, v2, s1
	v_xor_b32_e32 v0, v0, v3
	s_delay_alu instid0(VALU_DEP_1) | instskip(NEXT) | instid1(VALU_DEP_1)
	v_sub_nc_u32_e32 v0, v0, v3
	v_add_nc_u32_e32 v2, v19, v0
	global_load_i8 v39, v2, s[4:5]
	s_wait_loadcnt 0x0
	s_wait_xcnt 0x0
	v_cmpx_gt_i16_e32 4, v39
	s_cbranch_execz .LBB1_9
; %bb.11:                               ;   in Loop: Header=BB1_10 Depth=3
	v_add_nc_u32_e32 v3, s78, v38
	s_mov_b32 s86, exec_lo
	s_delay_alu instid0(VALU_DEP_1) | instskip(NEXT) | instid1(VALU_DEP_1)
	v_sub_nc_u32_e32 v0, 0, v3
	v_max_i32_e32 v0, v3, v0
	s_delay_alu instid0(VALU_DEP_1) | instskip(NEXT) | instid1(VALU_DEP_1)
	v_mul_u64_e32 v[4:5], s[18:19], v[0:1]
	v_mul_lo_u32 v4, v5, s27
	s_delay_alu instid0(VALU_DEP_1) | instskip(NEXT) | instid1(VALU_DEP_1)
	v_dual_sub_nc_u32 v0, v0, v4 :: v_dual_ashrrev_i32 v3, 31, v3
	v_subrev_nc_u32_e32 v4, s27, v0
	v_cmp_le_u32_e64 s1, s27, v0
	s_delay_alu instid0(VALU_DEP_1) | instskip(NEXT) | instid1(VALU_DEP_1)
	v_cndmask_b32_e64 v0, v0, v4, s1
	v_subrev_nc_u32_e32 v4, s27, v0
	v_cmp_le_u32_e64 s1, s27, v0
	s_delay_alu instid0(VALU_DEP_1) | instskip(NEXT) | instid1(VALU_DEP_1)
	v_cndmask_b32_e64 v0, v0, v4, s1
	v_xor_b32_e32 v0, v0, v3
	s_delay_alu instid0(VALU_DEP_1) | instskip(NEXT) | instid1(VALU_DEP_1)
	v_dual_sub_nc_u32 v0, v0, v3 :: v_dual_ashrrev_i32 v3, 31, v2
	v_add_nc_u32_e32 v8, v20, v0
	s_delay_alu instid0(VALU_DEP_2)
	v_add_nc_u64_e32 v[4:5], s[4:5], v[2:3]
	v_add_nc_u64_e32 v[6:7], s[6:7], v[2:3]
	v_lshl_add_u64 v[2:3], v[2:3], 2, s[8:9]
	global_load_u8 v0, v8, s[4:5]
	s_wait_loadcnt 0x0
	s_wait_xcnt 0x0
	v_cmpx_eq_u16_e32 10, v0
	s_cbranch_execz .LBB1_13
; %bb.12:                               ;   in Loop: Header=BB1_10 Depth=3
	v_dual_ashrrev_i32 v9, 31, v8 :: v_dual_mov_b32 v39, 2
	s_delay_alu instid0(VALU_DEP_1)
	v_add_nc_u64_e32 v[40:41], s[6:7], v[8:9]
	v_add_nc_u64_e32 v[8:9], s[4:5], v[8:9]
	global_load_u16 v42, v[2:3], off
	global_load_u8 v40, v[40:41], off
	s_clause 0x1
	global_store_b8 v[4:5], v39, off
	global_load_u8 v0, v[8:9], off
	s_wait_loadcnt 0x2
	s_wait_xcnt 0x0
	v_or_b32_e32 v8, 0x400, v42
	s_wait_loadcnt 0x1
	global_store_b8 v[6:7], v40, off
	global_store_b16 v[2:3], v8, off
.LBB1_13:                               ;   in Loop: Header=BB1_10 Depth=3
	s_wait_xcnt 0x0
	s_or_b32 exec_lo, exec_lo, s86
	s_wait_loadcnt 0x0
	v_and_b32_e32 v0, 0xff, v0
	s_mov_b32 s86, exec_lo
	s_delay_alu instid0(VALU_DEP_1)
	v_cmpx_eq_u16_e32 4, v0
	s_cbranch_execz .LBB1_17
; %bb.14:                               ;   in Loop: Header=BB1_10 Depth=3
	v_mov_b32_e32 v0, 2
	s_mov_b32 s87, exec_lo
	v_cmpx_ne_u16_e32 2, v39
	s_cbranch_execz .LBB1_16
; %bb.15:                               ;   in Loop: Header=BB1_10 Depth=3
	v_mov_b32_e32 v0, 3
	global_store_b8 v[4:5], v0, off
.LBB1_16:                               ;   in Loop: Header=BB1_10 Depth=3
	s_wait_xcnt 0x0
	s_or_b32 exec_lo, exec_lo, s87
	global_load_u16 v8, v[2:3], off
	v_mov_b32_e32 v39, v0
	s_wait_loadcnt 0x0
	v_or_b32_e32 v8, 0x400, v8
	global_store_b16 v[2:3], v8, off
.LBB1_17:                               ;   in Loop: Header=BB1_10 Depth=3
	s_wait_xcnt 0x0
	s_or_b32 exec_lo, exec_lo, s86
	v_add_nc_u32_e32 v40, s77, v38
	s_mov_b32 s86, exec_lo
	s_delay_alu instid0(VALU_DEP_1) | instskip(NEXT) | instid1(VALU_DEP_1)
	v_sub_nc_u32_e32 v0, 0, v40
	v_max_i32_e32 v0, v40, v0
	s_delay_alu instid0(VALU_DEP_1) | instskip(NEXT) | instid1(VALU_DEP_1)
	v_mul_u64_e32 v[8:9], s[18:19], v[0:1]
	v_mul_lo_u32 v8, v9, s27
	s_delay_alu instid0(VALU_DEP_1) | instskip(SKIP_1) | instid1(VALU_DEP_2)
	v_sub_nc_u32_e32 v0, v0, v8
	v_ashrrev_i32_e32 v9, 31, v40
	v_subrev_nc_u32_e32 v8, s27, v0
	v_cmp_le_u32_e64 s1, s27, v0
	s_delay_alu instid0(VALU_DEP_1) | instskip(NEXT) | instid1(VALU_DEP_1)
	v_cndmask_b32_e64 v0, v0, v8, s1
	v_subrev_nc_u32_e32 v8, s27, v0
	v_cmp_le_u32_e64 s1, s27, v0
	s_delay_alu instid0(VALU_DEP_1) | instskip(NEXT) | instid1(VALU_DEP_1)
	v_cndmask_b32_e64 v0, v0, v8, s1
	v_xor_b32_e32 v0, v0, v9
	s_delay_alu instid0(VALU_DEP_1) | instskip(NEXT) | instid1(VALU_DEP_1)
	v_sub_nc_u32_e32 v0, v0, v9
	v_add_nc_u32_e32 v8, v21, v0
	global_load_u8 v0, v8, s[4:5]
	s_wait_loadcnt 0x0
	v_cmpx_eq_u16_e32 10, v0
	s_cbranch_execz .LBB1_19
; %bb.18:                               ;   in Loop: Header=BB1_10 Depth=3
	v_dual_ashrrev_i32 v9, 31, v8 :: v_dual_mov_b32 v39, 2
	s_delay_alu instid0(VALU_DEP_1)
	v_add_nc_u64_e32 v[40:41], s[6:7], v[8:9]
	v_add_nc_u64_e32 v[8:9], s[4:5], v[8:9]
	global_load_u16 v42, v[2:3], off
	global_load_u8 v40, v[40:41], off
	s_clause 0x1
	global_store_b8 v[4:5], v39, off
	global_load_u8 v0, v[8:9], off
	s_wait_loadcnt 0x2
	s_wait_xcnt 0x0
	v_or_b32_e32 v8, 0x800, v42
	s_wait_loadcnt 0x1
	global_store_b8 v[6:7], v40, off
	global_store_b16 v[2:3], v8, off
.LBB1_19:                               ;   in Loop: Header=BB1_10 Depth=3
	s_wait_xcnt 0x0
	s_or_b32 exec_lo, exec_lo, s86
	s_wait_loadcnt 0x0
	v_and_b32_e32 v0, 0xff, v0
	s_mov_b32 s86, exec_lo
	s_delay_alu instid0(VALU_DEP_1)
	v_cmpx_eq_u16_e32 4, v0
	s_cbranch_execz .LBB1_23
; %bb.20:                               ;   in Loop: Header=BB1_10 Depth=3
	v_mov_b32_e32 v0, 2
	s_mov_b32 s87, exec_lo
	v_cmpx_ne_u16_e32 2, v39
	s_cbranch_execz .LBB1_22
; %bb.21:                               ;   in Loop: Header=BB1_10 Depth=3
	v_mov_b32_e32 v0, 3
	global_store_b8 v[4:5], v0, off
.LBB1_22:                               ;   in Loop: Header=BB1_10 Depth=3
	s_wait_xcnt 0x0
	s_or_b32 exec_lo, exec_lo, s87
	global_load_u16 v8, v[2:3], off
	v_mov_b32_e32 v39, v0
	s_wait_loadcnt 0x0
	v_or_b32_e32 v8, 0x800, v8
	global_store_b16 v[2:3], v8, off
.LBB1_23:                               ;   in Loop: Header=BB1_10 Depth=3
	s_wait_xcnt 0x0
	s_or_b32 exec_lo, exec_lo, s86
	v_add_nc_u32_e32 v40, s76, v38
	s_mov_b32 s86, exec_lo
	s_delay_alu instid0(VALU_DEP_1) | instskip(NEXT) | instid1(VALU_DEP_1)
	v_sub_nc_u32_e32 v0, 0, v40
	v_max_i32_e32 v0, v40, v0
	s_delay_alu instid0(VALU_DEP_1) | instskip(NEXT) | instid1(VALU_DEP_1)
	v_mul_u64_e32 v[8:9], s[18:19], v[0:1]
	v_mul_lo_u32 v8, v9, s27
	s_delay_alu instid0(VALU_DEP_1) | instskip(SKIP_1) | instid1(VALU_DEP_2)
	v_sub_nc_u32_e32 v0, v0, v8
	v_ashrrev_i32_e32 v9, 31, v40
	v_subrev_nc_u32_e32 v8, s27, v0
	v_cmp_le_u32_e64 s1, s27, v0
	s_delay_alu instid0(VALU_DEP_1) | instskip(NEXT) | instid1(VALU_DEP_1)
	v_cndmask_b32_e64 v0, v0, v8, s1
	v_subrev_nc_u32_e32 v8, s27, v0
	v_cmp_le_u32_e64 s1, s27, v0
	s_delay_alu instid0(VALU_DEP_1) | instskip(NEXT) | instid1(VALU_DEP_1)
	v_cndmask_b32_e64 v0, v0, v8, s1
	v_xor_b32_e32 v0, v0, v9
	s_delay_alu instid0(VALU_DEP_1) | instskip(NEXT) | instid1(VALU_DEP_1)
	v_sub_nc_u32_e32 v0, v0, v9
	v_add_nc_u32_e32 v8, v22, v0
	global_load_u8 v0, v8, s[4:5]
	s_wait_loadcnt 0x0
	v_cmpx_eq_u16_e32 10, v0
	s_cbranch_execz .LBB1_25
; %bb.24:                               ;   in Loop: Header=BB1_10 Depth=3
	v_dual_ashrrev_i32 v9, 31, v8 :: v_dual_mov_b32 v39, 2
	s_delay_alu instid0(VALU_DEP_1)
	v_add_nc_u64_e32 v[40:41], s[6:7], v[8:9]
	v_add_nc_u64_e32 v[8:9], s[4:5], v[8:9]
	global_load_u16 v42, v[2:3], off
	global_load_u8 v40, v[40:41], off
	s_clause 0x1
	global_store_b8 v[4:5], v39, off
	global_load_u8 v0, v[8:9], off
	s_wait_loadcnt 0x2
	s_wait_xcnt 0x0
	v_or_b32_e32 v8, 0x1000, v42
	s_wait_loadcnt 0x1
	global_store_b8 v[6:7], v40, off
	global_store_b16 v[2:3], v8, off
.LBB1_25:                               ;   in Loop: Header=BB1_10 Depth=3
	s_wait_xcnt 0x0
	s_or_b32 exec_lo, exec_lo, s86
	s_wait_loadcnt 0x0
	v_and_b32_e32 v0, 0xff, v0
	s_mov_b32 s86, exec_lo
	s_delay_alu instid0(VALU_DEP_1)
	v_cmpx_eq_u16_e32 4, v0
	s_cbranch_execz .LBB1_29
; %bb.26:                               ;   in Loop: Header=BB1_10 Depth=3
	v_mov_b32_e32 v0, 2
	s_mov_b32 s87, exec_lo
	v_cmpx_ne_u16_e32 2, v39
	s_cbranch_execz .LBB1_28
; %bb.27:                               ;   in Loop: Header=BB1_10 Depth=3
	v_mov_b32_e32 v0, 3
	global_store_b8 v[4:5], v0, off
.LBB1_28:                               ;   in Loop: Header=BB1_10 Depth=3
	s_wait_xcnt 0x0
	s_or_b32 exec_lo, exec_lo, s87
	global_load_u16 v8, v[2:3], off
	v_mov_b32_e32 v39, v0
	s_wait_loadcnt 0x0
	v_or_b32_e32 v8, 0x1000, v8
	global_store_b16 v[2:3], v8, off
.LBB1_29:                               ;   in Loop: Header=BB1_10 Depth=3
	s_wait_xcnt 0x0
	s_or_b32 exec_lo, exec_lo, s86
	v_add_nc_u32_e32 v40, s75, v38
	s_mov_b32 s86, exec_lo
	s_delay_alu instid0(VALU_DEP_1) | instskip(NEXT) | instid1(VALU_DEP_1)
	v_sub_nc_u32_e32 v0, 0, v40
	v_max_i32_e32 v0, v40, v0
	s_delay_alu instid0(VALU_DEP_1) | instskip(NEXT) | instid1(VALU_DEP_1)
	v_mul_u64_e32 v[8:9], s[18:19], v[0:1]
	v_mul_lo_u32 v8, v9, s27
	s_delay_alu instid0(VALU_DEP_1) | instskip(SKIP_1) | instid1(VALU_DEP_2)
	v_sub_nc_u32_e32 v0, v0, v8
	v_ashrrev_i32_e32 v9, 31, v40
	v_subrev_nc_u32_e32 v8, s27, v0
	v_cmp_le_u32_e64 s1, s27, v0
	s_delay_alu instid0(VALU_DEP_1) | instskip(NEXT) | instid1(VALU_DEP_1)
	v_cndmask_b32_e64 v0, v0, v8, s1
	v_subrev_nc_u32_e32 v8, s27, v0
	v_cmp_le_u32_e64 s1, s27, v0
	s_delay_alu instid0(VALU_DEP_1) | instskip(NEXT) | instid1(VALU_DEP_1)
	v_cndmask_b32_e64 v0, v0, v8, s1
	v_xor_b32_e32 v0, v0, v9
	s_delay_alu instid0(VALU_DEP_1) | instskip(NEXT) | instid1(VALU_DEP_1)
	v_sub_nc_u32_e32 v0, v0, v9
	v_add_nc_u32_e32 v8, v23, v0
	global_load_u8 v0, v8, s[4:5]
	s_wait_loadcnt 0x0
	v_cmpx_eq_u16_e32 10, v0
	s_cbranch_execz .LBB1_31
; %bb.30:                               ;   in Loop: Header=BB1_10 Depth=3
	v_dual_ashrrev_i32 v9, 31, v8 :: v_dual_mov_b32 v39, 2
	s_delay_alu instid0(VALU_DEP_1)
	v_add_nc_u64_e32 v[40:41], s[6:7], v[8:9]
	v_add_nc_u64_e32 v[8:9], s[4:5], v[8:9]
	global_load_u16 v42, v[2:3], off
	global_load_u8 v40, v[40:41], off
	s_clause 0x1
	global_store_b8 v[4:5], v39, off
	global_load_u8 v0, v[8:9], off
	s_wait_loadcnt 0x2
	s_wait_xcnt 0x0
	v_or_b32_e32 v8, 0x2000, v42
	s_wait_loadcnt 0x1
	global_store_b8 v[6:7], v40, off
	global_store_b16 v[2:3], v8, off
.LBB1_31:                               ;   in Loop: Header=BB1_10 Depth=3
	s_wait_xcnt 0x0
	s_or_b32 exec_lo, exec_lo, s86
	s_wait_loadcnt 0x0
	v_and_b32_e32 v0, 0xff, v0
	s_mov_b32 s86, exec_lo
	s_delay_alu instid0(VALU_DEP_1)
	v_cmpx_eq_u16_e32 4, v0
	s_cbranch_execz .LBB1_35
; %bb.32:                               ;   in Loop: Header=BB1_10 Depth=3
	v_mov_b32_e32 v0, 2
	s_mov_b32 s87, exec_lo
	v_cmpx_ne_u16_e32 2, v39
	s_cbranch_execz .LBB1_34
; %bb.33:                               ;   in Loop: Header=BB1_10 Depth=3
	v_mov_b32_e32 v0, 3
	global_store_b8 v[4:5], v0, off
.LBB1_34:                               ;   in Loop: Header=BB1_10 Depth=3
	s_wait_xcnt 0x0
	s_or_b32 exec_lo, exec_lo, s87
	global_load_u16 v8, v[2:3], off
	v_mov_b32_e32 v39, v0
	s_wait_loadcnt 0x0
	v_or_b32_e32 v8, 0x2000, v8
	global_store_b16 v[2:3], v8, off
.LBB1_35:                               ;   in Loop: Header=BB1_10 Depth=3
	s_wait_xcnt 0x0
	s_or_b32 exec_lo, exec_lo, s86
	v_add_nc_u32_e32 v40, s74, v38
	s_mov_b32 s86, exec_lo
	s_delay_alu instid0(VALU_DEP_1) | instskip(NEXT) | instid1(VALU_DEP_1)
	v_sub_nc_u32_e32 v0, 0, v40
	v_max_i32_e32 v0, v40, v0
	s_delay_alu instid0(VALU_DEP_1) | instskip(NEXT) | instid1(VALU_DEP_1)
	v_mul_u64_e32 v[8:9], s[18:19], v[0:1]
	v_mul_lo_u32 v8, v9, s27
	s_delay_alu instid0(VALU_DEP_1) | instskip(SKIP_1) | instid1(VALU_DEP_2)
	v_sub_nc_u32_e32 v0, v0, v8
	v_ashrrev_i32_e32 v9, 31, v40
	v_subrev_nc_u32_e32 v8, s27, v0
	v_cmp_le_u32_e64 s1, s27, v0
	s_delay_alu instid0(VALU_DEP_1) | instskip(NEXT) | instid1(VALU_DEP_1)
	v_cndmask_b32_e64 v0, v0, v8, s1
	v_subrev_nc_u32_e32 v8, s27, v0
	v_cmp_le_u32_e64 s1, s27, v0
	s_delay_alu instid0(VALU_DEP_1) | instskip(NEXT) | instid1(VALU_DEP_1)
	v_cndmask_b32_e64 v0, v0, v8, s1
	v_xor_b32_e32 v0, v0, v9
	s_delay_alu instid0(VALU_DEP_1) | instskip(NEXT) | instid1(VALU_DEP_1)
	v_sub_nc_u32_e32 v0, v0, v9
	v_add_nc_u32_e32 v8, v24, v0
	global_load_u8 v0, v8, s[4:5]
	s_wait_loadcnt 0x0
	v_cmpx_eq_u16_e32 10, v0
	s_cbranch_execz .LBB1_37
; %bb.36:                               ;   in Loop: Header=BB1_10 Depth=3
	v_dual_ashrrev_i32 v9, 31, v8 :: v_dual_mov_b32 v39, 2
	s_delay_alu instid0(VALU_DEP_1)
	v_add_nc_u64_e32 v[40:41], s[6:7], v[8:9]
	v_add_nc_u64_e32 v[8:9], s[4:5], v[8:9]
	global_load_u16 v42, v[2:3], off
	global_load_u8 v40, v[40:41], off
	s_clause 0x1
	global_store_b8 v[4:5], v39, off
	global_load_u8 v0, v[8:9], off
	s_wait_loadcnt 0x2
	s_wait_xcnt 0x0
	v_or_b32_e32 v8, 0x4000, v42
	s_wait_loadcnt 0x1
	global_store_b8 v[6:7], v40, off
	global_store_b16 v[2:3], v8, off
.LBB1_37:                               ;   in Loop: Header=BB1_10 Depth=3
	s_wait_xcnt 0x0
	s_or_b32 exec_lo, exec_lo, s86
	s_wait_loadcnt 0x0
	v_and_b32_e32 v0, 0xff, v0
	s_mov_b32 s86, exec_lo
	s_delay_alu instid0(VALU_DEP_1)
	v_cmpx_eq_u16_e32 4, v0
	s_cbranch_execz .LBB1_41
; %bb.38:                               ;   in Loop: Header=BB1_10 Depth=3
	v_mov_b32_e32 v0, 2
	s_mov_b32 s87, exec_lo
	v_cmpx_ne_u16_e32 2, v39
	s_cbranch_execz .LBB1_40
; %bb.39:                               ;   in Loop: Header=BB1_10 Depth=3
	v_mov_b32_e32 v0, 3
	global_store_b8 v[4:5], v0, off
.LBB1_40:                               ;   in Loop: Header=BB1_10 Depth=3
	s_wait_xcnt 0x0
	s_or_b32 exec_lo, exec_lo, s87
	global_load_u16 v8, v[2:3], off
	v_mov_b32_e32 v39, v0
	s_wait_loadcnt 0x0
	v_or_b32_e32 v8, 0x4000, v8
	global_store_b16 v[2:3], v8, off
.LBB1_41:                               ;   in Loop: Header=BB1_10 Depth=3
	s_wait_xcnt 0x0
	s_or_b32 exec_lo, exec_lo, s86
	v_add_nc_u32_e32 v40, s73, v38
	s_mov_b32 s86, exec_lo
	s_delay_alu instid0(VALU_DEP_1) | instskip(NEXT) | instid1(VALU_DEP_1)
	v_sub_nc_u32_e32 v0, 0, v40
	v_max_i32_e32 v0, v40, v0
	s_delay_alu instid0(VALU_DEP_1) | instskip(NEXT) | instid1(VALU_DEP_1)
	v_mul_u64_e32 v[8:9], s[18:19], v[0:1]
	v_mul_lo_u32 v8, v9, s27
	s_delay_alu instid0(VALU_DEP_1) | instskip(SKIP_1) | instid1(VALU_DEP_2)
	v_sub_nc_u32_e32 v0, v0, v8
	v_ashrrev_i32_e32 v9, 31, v40
	v_subrev_nc_u32_e32 v8, s27, v0
	v_cmp_le_u32_e64 s1, s27, v0
	s_delay_alu instid0(VALU_DEP_1) | instskip(NEXT) | instid1(VALU_DEP_1)
	v_cndmask_b32_e64 v0, v0, v8, s1
	v_subrev_nc_u32_e32 v8, s27, v0
	v_cmp_le_u32_e64 s1, s27, v0
	s_delay_alu instid0(VALU_DEP_1) | instskip(NEXT) | instid1(VALU_DEP_1)
	v_cndmask_b32_e64 v0, v0, v8, s1
	v_xor_b32_e32 v0, v0, v9
	s_delay_alu instid0(VALU_DEP_1) | instskip(NEXT) | instid1(VALU_DEP_1)
	v_sub_nc_u32_e32 v0, v0, v9
	v_add_nc_u32_e32 v8, v25, v0
	global_load_u8 v0, v8, s[4:5]
	s_wait_loadcnt 0x0
	v_cmpx_eq_u16_e32 10, v0
	s_cbranch_execz .LBB1_43
; %bb.42:                               ;   in Loop: Header=BB1_10 Depth=3
	v_dual_ashrrev_i32 v9, 31, v8 :: v_dual_mov_b32 v39, 2
	s_delay_alu instid0(VALU_DEP_1)
	v_add_nc_u64_e32 v[40:41], s[6:7], v[8:9]
	v_add_nc_u64_e32 v[8:9], s[4:5], v[8:9]
	global_load_u16 v42, v[2:3], off
	global_load_u8 v40, v[40:41], off
	s_clause 0x1
	global_store_b8 v[4:5], v39, off
	global_load_u8 v0, v[8:9], off
	s_wait_loadcnt 0x2
	s_wait_xcnt 0x0
	v_or_b32_e32 v8, 0xffff8000, v42
	s_wait_loadcnt 0x1
	global_store_b8 v[6:7], v40, off
	global_store_b16 v[2:3], v8, off
.LBB1_43:                               ;   in Loop: Header=BB1_10 Depth=3
	s_wait_xcnt 0x0
	s_or_b32 exec_lo, exec_lo, s86
	s_wait_loadcnt 0x0
	v_and_b32_e32 v0, 0xff, v0
	s_mov_b32 s86, exec_lo
	s_delay_alu instid0(VALU_DEP_1)
	v_cmpx_eq_u16_e32 4, v0
	s_cbranch_execz .LBB1_47
; %bb.44:                               ;   in Loop: Header=BB1_10 Depth=3
	v_mov_b32_e32 v0, 2
	s_mov_b32 s87, exec_lo
	v_cmpx_ne_u16_e32 2, v39
	s_cbranch_execz .LBB1_46
; %bb.45:                               ;   in Loop: Header=BB1_10 Depth=3
	v_mov_b32_e32 v0, 3
	global_store_b8 v[4:5], v0, off
.LBB1_46:                               ;   in Loop: Header=BB1_10 Depth=3
	s_wait_xcnt 0x0
	s_or_b32 exec_lo, exec_lo, s87
	global_load_u16 v8, v[2:3], off
	v_mov_b32_e32 v39, v0
	s_wait_loadcnt 0x0
	v_or_b32_e32 v8, 0xffff8000, v8
	global_store_b16 v[2:3], v8, off
.LBB1_47:                               ;   in Loop: Header=BB1_10 Depth=3
	s_wait_xcnt 0x0
	s_or_b32 exec_lo, exec_lo, s86
	v_add_nc_u32_e32 v40, s72, v38
	s_mov_b32 s86, exec_lo
	s_delay_alu instid0(VALU_DEP_1) | instskip(NEXT) | instid1(VALU_DEP_1)
	v_sub_nc_u32_e32 v0, 0, v40
	v_max_i32_e32 v0, v40, v0
	s_delay_alu instid0(VALU_DEP_1) | instskip(NEXT) | instid1(VALU_DEP_1)
	v_mul_u64_e32 v[8:9], s[18:19], v[0:1]
	v_mul_lo_u32 v8, v9, s27
	s_delay_alu instid0(VALU_DEP_1) | instskip(SKIP_1) | instid1(VALU_DEP_2)
	v_sub_nc_u32_e32 v0, v0, v8
	v_ashrrev_i32_e32 v9, 31, v40
	v_subrev_nc_u32_e32 v8, s27, v0
	v_cmp_le_u32_e64 s1, s27, v0
	s_delay_alu instid0(VALU_DEP_1) | instskip(NEXT) | instid1(VALU_DEP_1)
	v_cndmask_b32_e64 v0, v0, v8, s1
	v_subrev_nc_u32_e32 v8, s27, v0
	v_cmp_le_u32_e64 s1, s27, v0
	s_delay_alu instid0(VALU_DEP_1) | instskip(NEXT) | instid1(VALU_DEP_1)
	v_cndmask_b32_e64 v0, v0, v8, s1
	v_xor_b32_e32 v0, v0, v9
	s_delay_alu instid0(VALU_DEP_1) | instskip(NEXT) | instid1(VALU_DEP_1)
	v_sub_nc_u32_e32 v0, v0, v9
	v_add_nc_u32_e32 v8, v26, v0
	global_load_u8 v0, v8, s[4:5]
	s_wait_loadcnt 0x0
	v_cmpx_eq_u16_e32 10, v0
	s_cbranch_execz .LBB1_49
; %bb.48:                               ;   in Loop: Header=BB1_10 Depth=3
	v_dual_ashrrev_i32 v9, 31, v8 :: v_dual_mov_b32 v39, 2
	s_delay_alu instid0(VALU_DEP_1)
	v_add_nc_u64_e32 v[40:41], s[6:7], v[8:9]
	v_add_nc_u64_e32 v[8:9], s[4:5], v[8:9]
	global_load_u16 v42, v[2:3], off offset:1
	global_load_u8 v40, v[40:41], off
	s_clause 0x1
	global_store_b8 v[4:5], v39, off
	global_load_u8 v0, v[8:9], off
	s_wait_loadcnt 0x2
	s_wait_xcnt 0x0
	v_or_b32_e32 v8, 0x100, v42
	s_wait_loadcnt 0x1
	global_store_b8 v[6:7], v40, off
	global_store_b16 v[2:3], v8, off offset:1
.LBB1_49:                               ;   in Loop: Header=BB1_10 Depth=3
	s_wait_xcnt 0x0
	s_or_b32 exec_lo, exec_lo, s86
	s_wait_loadcnt 0x0
	v_and_b32_e32 v0, 0xff, v0
	s_mov_b32 s86, exec_lo
	s_delay_alu instid0(VALU_DEP_1)
	v_cmpx_eq_u16_e32 4, v0
	s_cbranch_execz .LBB1_53
; %bb.50:                               ;   in Loop: Header=BB1_10 Depth=3
	v_mov_b32_e32 v0, 2
	s_mov_b32 s87, exec_lo
	v_cmpx_ne_u16_e32 2, v39
	s_cbranch_execz .LBB1_52
; %bb.51:                               ;   in Loop: Header=BB1_10 Depth=3
	v_mov_b32_e32 v0, 3
	global_store_b8 v[4:5], v0, off
.LBB1_52:                               ;   in Loop: Header=BB1_10 Depth=3
	s_wait_xcnt 0x0
	s_or_b32 exec_lo, exec_lo, s87
	global_load_u16 v8, v[2:3], off offset:1
	v_mov_b32_e32 v39, v0
	s_wait_loadcnt 0x0
	v_or_b32_e32 v8, 0x100, v8
	global_store_b16 v[2:3], v8, off offset:1
.LBB1_53:                               ;   in Loop: Header=BB1_10 Depth=3
	s_wait_xcnt 0x0
	s_or_b32 exec_lo, exec_lo, s86
	v_add_nc_u32_e32 v40, s71, v38
	s_mov_b32 s86, exec_lo
	s_delay_alu instid0(VALU_DEP_1) | instskip(NEXT) | instid1(VALU_DEP_1)
	v_sub_nc_u32_e32 v0, 0, v40
	v_max_i32_e32 v0, v40, v0
	s_delay_alu instid0(VALU_DEP_1) | instskip(NEXT) | instid1(VALU_DEP_1)
	v_mul_u64_e32 v[8:9], s[18:19], v[0:1]
	v_mul_lo_u32 v8, v9, s27
	s_delay_alu instid0(VALU_DEP_1) | instskip(SKIP_1) | instid1(VALU_DEP_2)
	v_sub_nc_u32_e32 v0, v0, v8
	v_ashrrev_i32_e32 v9, 31, v40
	v_subrev_nc_u32_e32 v8, s27, v0
	v_cmp_le_u32_e64 s1, s27, v0
	s_delay_alu instid0(VALU_DEP_1) | instskip(NEXT) | instid1(VALU_DEP_1)
	v_cndmask_b32_e64 v0, v0, v8, s1
	v_subrev_nc_u32_e32 v8, s27, v0
	v_cmp_le_u32_e64 s1, s27, v0
	s_delay_alu instid0(VALU_DEP_1) | instskip(NEXT) | instid1(VALU_DEP_1)
	v_cndmask_b32_e64 v0, v0, v8, s1
	v_xor_b32_e32 v0, v0, v9
	s_delay_alu instid0(VALU_DEP_1) | instskip(NEXT) | instid1(VALU_DEP_1)
	v_sub_nc_u32_e32 v0, v0, v9
	v_add_nc_u32_e32 v8, v27, v0
	global_load_u8 v0, v8, s[4:5]
	s_wait_loadcnt 0x0
	v_cmpx_eq_u16_e32 10, v0
	s_cbranch_execz .LBB1_55
; %bb.54:                               ;   in Loop: Header=BB1_10 Depth=3
	v_dual_ashrrev_i32 v9, 31, v8 :: v_dual_mov_b32 v39, 2
	s_delay_alu instid0(VALU_DEP_1)
	v_add_nc_u64_e32 v[40:41], s[6:7], v[8:9]
	v_add_nc_u64_e32 v[8:9], s[4:5], v[8:9]
	global_load_u16 v42, v[2:3], off offset:1
	global_load_u8 v40, v[40:41], off
	s_clause 0x1
	global_store_b8 v[4:5], v39, off
	global_load_u8 v0, v[8:9], off
	s_wait_loadcnt 0x2
	s_wait_xcnt 0x0
	v_or_b32_e32 v8, 0x200, v42
	s_wait_loadcnt 0x1
	global_store_b8 v[6:7], v40, off
	global_store_b16 v[2:3], v8, off offset:1
.LBB1_55:                               ;   in Loop: Header=BB1_10 Depth=3
	s_wait_xcnt 0x0
	s_or_b32 exec_lo, exec_lo, s86
	s_wait_loadcnt 0x0
	v_and_b32_e32 v0, 0xff, v0
	s_mov_b32 s86, exec_lo
	s_delay_alu instid0(VALU_DEP_1)
	v_cmpx_eq_u16_e32 4, v0
	s_cbranch_execz .LBB1_59
; %bb.56:                               ;   in Loop: Header=BB1_10 Depth=3
	v_mov_b32_e32 v0, 2
	s_mov_b32 s87, exec_lo
	v_cmpx_ne_u16_e32 2, v39
	s_cbranch_execz .LBB1_58
; %bb.57:                               ;   in Loop: Header=BB1_10 Depth=3
	v_mov_b32_e32 v0, 3
	global_store_b8 v[4:5], v0, off
.LBB1_58:                               ;   in Loop: Header=BB1_10 Depth=3
	s_wait_xcnt 0x0
	s_or_b32 exec_lo, exec_lo, s87
	global_load_u16 v8, v[2:3], off offset:1
	v_mov_b32_e32 v39, v0
	s_wait_loadcnt 0x0
	v_or_b32_e32 v8, 0x200, v8
	global_store_b16 v[2:3], v8, off offset:1
.LBB1_59:                               ;   in Loop: Header=BB1_10 Depth=3
	s_wait_xcnt 0x0
	s_or_b32 exec_lo, exec_lo, s86
	v_add_nc_u32_e32 v40, v16, v38
	s_mov_b32 s86, exec_lo
	s_delay_alu instid0(VALU_DEP_1) | instskip(NEXT) | instid1(VALU_DEP_1)
	v_sub_nc_u32_e32 v0, 0, v40
	v_max_i32_e32 v0, v40, v0
	s_delay_alu instid0(VALU_DEP_1) | instskip(NEXT) | instid1(VALU_DEP_1)
	v_mul_u64_e32 v[8:9], s[18:19], v[0:1]
	v_mul_lo_u32 v8, v9, s27
	v_ashrrev_i32_e32 v9, 31, v40
	s_delay_alu instid0(VALU_DEP_2) | instskip(NEXT) | instid1(VALU_DEP_1)
	v_sub_nc_u32_e32 v0, v0, v8
	v_subrev_nc_u32_e32 v8, s27, v0
	v_cmp_le_u32_e64 s1, s27, v0
	s_delay_alu instid0(VALU_DEP_1) | instskip(NEXT) | instid1(VALU_DEP_1)
	v_cndmask_b32_e64 v0, v0, v8, s1
	v_subrev_nc_u32_e32 v8, s27, v0
	v_cmp_le_u32_e64 s1, s27, v0
	s_delay_alu instid0(VALU_DEP_1) | instskip(NEXT) | instid1(VALU_DEP_1)
	v_cndmask_b32_e64 v0, v0, v8, s1
	v_xor_b32_e32 v0, v0, v9
	s_delay_alu instid0(VALU_DEP_1) | instskip(NEXT) | instid1(VALU_DEP_1)
	v_sub_nc_u32_e32 v0, v0, v9
	v_add_nc_u32_e32 v8, v28, v0
	global_load_u8 v0, v8, s[4:5]
	s_wait_loadcnt 0x0
	v_cmpx_eq_u16_e32 10, v0
	s_cbranch_execz .LBB1_61
; %bb.60:                               ;   in Loop: Header=BB1_10 Depth=3
	v_dual_ashrrev_i32 v9, 31, v8 :: v_dual_mov_b32 v39, 2
	s_delay_alu instid0(VALU_DEP_1)
	v_add_nc_u64_e32 v[40:41], s[6:7], v[8:9]
	v_add_nc_u64_e32 v[8:9], s[4:5], v[8:9]
	global_load_u16 v42, v[2:3], off offset:1
	global_load_u8 v40, v[40:41], off
	s_clause 0x1
	global_store_b8 v[4:5], v39, off
	global_load_u8 v0, v[8:9], off
	s_wait_loadcnt 0x2
	s_wait_xcnt 0x0
	v_or_b32_e32 v8, 0x400, v42
	s_wait_loadcnt 0x1
	global_store_b8 v[6:7], v40, off
	global_store_b16 v[2:3], v8, off offset:1
.LBB1_61:                               ;   in Loop: Header=BB1_10 Depth=3
	s_wait_xcnt 0x0
	s_or_b32 exec_lo, exec_lo, s86
	s_wait_loadcnt 0x0
	v_and_b32_e32 v0, 0xff, v0
	s_mov_b32 s86, exec_lo
	s_delay_alu instid0(VALU_DEP_1)
	v_cmpx_eq_u16_e32 4, v0
	s_cbranch_execz .LBB1_65
; %bb.62:                               ;   in Loop: Header=BB1_10 Depth=3
	v_mov_b32_e32 v0, 2
	s_mov_b32 s87, exec_lo
	v_cmpx_ne_u16_e32 2, v39
	s_cbranch_execz .LBB1_64
; %bb.63:                               ;   in Loop: Header=BB1_10 Depth=3
	v_mov_b32_e32 v0, 3
	global_store_b8 v[4:5], v0, off
.LBB1_64:                               ;   in Loop: Header=BB1_10 Depth=3
	s_wait_xcnt 0x0
	s_or_b32 exec_lo, exec_lo, s87
	global_load_u16 v8, v[2:3], off offset:1
	v_mov_b32_e32 v39, v0
	s_wait_loadcnt 0x0
	v_or_b32_e32 v8, 0x400, v8
	global_store_b16 v[2:3], v8, off offset:1
.LBB1_65:                               ;   in Loop: Header=BB1_10 Depth=3
	s_wait_xcnt 0x0
	s_or_b32 exec_lo, exec_lo, s86
	v_add_nc_u32_e32 v40, v15, v38
	s_mov_b32 s86, exec_lo
	s_delay_alu instid0(VALU_DEP_1) | instskip(NEXT) | instid1(VALU_DEP_1)
	v_sub_nc_u32_e32 v0, 0, v40
	v_max_i32_e32 v0, v40, v0
	s_delay_alu instid0(VALU_DEP_1) | instskip(NEXT) | instid1(VALU_DEP_1)
	v_mul_u64_e32 v[8:9], s[18:19], v[0:1]
	v_mul_lo_u32 v8, v9, s27
	s_delay_alu instid0(VALU_DEP_1) | instskip(SKIP_1) | instid1(VALU_DEP_2)
	v_sub_nc_u32_e32 v0, v0, v8
	v_ashrrev_i32_e32 v9, 31, v40
	v_subrev_nc_u32_e32 v8, s27, v0
	v_cmp_le_u32_e64 s1, s27, v0
	s_delay_alu instid0(VALU_DEP_1) | instskip(NEXT) | instid1(VALU_DEP_1)
	v_cndmask_b32_e64 v0, v0, v8, s1
	v_subrev_nc_u32_e32 v8, s27, v0
	v_cmp_le_u32_e64 s1, s27, v0
	s_delay_alu instid0(VALU_DEP_1) | instskip(NEXT) | instid1(VALU_DEP_1)
	v_cndmask_b32_e64 v0, v0, v8, s1
	v_xor_b32_e32 v0, v0, v9
	s_delay_alu instid0(VALU_DEP_1) | instskip(NEXT) | instid1(VALU_DEP_1)
	v_sub_nc_u32_e32 v0, v0, v9
	v_add_nc_u32_e32 v8, v29, v0
	global_load_u8 v0, v8, s[4:5]
	s_wait_loadcnt 0x0
	v_cmpx_eq_u16_e32 10, v0
	s_cbranch_execz .LBB1_67
; %bb.66:                               ;   in Loop: Header=BB1_10 Depth=3
	v_dual_ashrrev_i32 v9, 31, v8 :: v_dual_mov_b32 v39, 2
	s_delay_alu instid0(VALU_DEP_1)
	v_add_nc_u64_e32 v[40:41], s[6:7], v[8:9]
	v_add_nc_u64_e32 v[8:9], s[4:5], v[8:9]
	global_load_u16 v42, v[2:3], off
	global_load_u8 v40, v[40:41], off
	s_clause 0x1
	global_store_b8 v[4:5], v39, off
	global_load_u8 v0, v[8:9], off
	s_wait_loadcnt 0x2
	s_wait_xcnt 0x0
	v_or_b32_e32 v8, 2, v42
	s_wait_loadcnt 0x1
	global_store_b8 v[6:7], v40, off
	global_store_b16 v[2:3], v8, off
.LBB1_67:                               ;   in Loop: Header=BB1_10 Depth=3
	s_wait_xcnt 0x0
	s_or_b32 exec_lo, exec_lo, s86
	s_wait_loadcnt 0x0
	v_and_b32_e32 v0, 0xff, v0
	s_mov_b32 s86, exec_lo
	s_delay_alu instid0(VALU_DEP_1)
	v_cmpx_eq_u16_e32 4, v0
	s_cbranch_execz .LBB1_71
; %bb.68:                               ;   in Loop: Header=BB1_10 Depth=3
	v_mov_b32_e32 v0, 2
	s_mov_b32 s87, exec_lo
	v_cmpx_ne_u16_e32 2, v39
	s_cbranch_execz .LBB1_70
; %bb.69:                               ;   in Loop: Header=BB1_10 Depth=3
	v_mov_b32_e32 v0, 3
	global_store_b8 v[4:5], v0, off
.LBB1_70:                               ;   in Loop: Header=BB1_10 Depth=3
	s_wait_xcnt 0x0
	s_or_b32 exec_lo, exec_lo, s87
	global_load_u16 v8, v[2:3], off
	s_wait_loadcnt 0x0
	v_dual_mov_b32 v39, v0 :: v_dual_bitop2_b32 v8, 2, v8 bitop3:0x54
	global_store_b16 v[2:3], v8, off
.LBB1_71:                               ;   in Loop: Header=BB1_10 Depth=3
	s_wait_xcnt 0x0
	s_or_b32 exec_lo, exec_lo, s86
	v_add_nc_u32_e32 v40, s29, v38
	s_mov_b32 s86, exec_lo
	s_delay_alu instid0(VALU_DEP_1) | instskip(NEXT) | instid1(VALU_DEP_1)
	v_sub_nc_u32_e32 v0, 0, v40
	v_max_i32_e32 v0, v40, v0
	s_delay_alu instid0(VALU_DEP_1) | instskip(NEXT) | instid1(VALU_DEP_1)
	v_mul_u64_e32 v[8:9], s[18:19], v[0:1]
	v_mul_lo_u32 v8, v9, s27
	s_delay_alu instid0(VALU_DEP_1) | instskip(SKIP_1) | instid1(VALU_DEP_2)
	v_sub_nc_u32_e32 v0, v0, v8
	v_ashrrev_i32_e32 v9, 31, v40
	v_subrev_nc_u32_e32 v8, s27, v0
	v_cmp_le_u32_e64 s1, s27, v0
	s_delay_alu instid0(VALU_DEP_1) | instskip(NEXT) | instid1(VALU_DEP_1)
	v_cndmask_b32_e64 v0, v0, v8, s1
	v_subrev_nc_u32_e32 v8, s27, v0
	v_cmp_le_u32_e64 s1, s27, v0
	s_delay_alu instid0(VALU_DEP_1) | instskip(NEXT) | instid1(VALU_DEP_1)
	v_cndmask_b32_e64 v0, v0, v8, s1
	v_xor_b32_e32 v0, v0, v9
	s_delay_alu instid0(VALU_DEP_1) | instskip(NEXT) | instid1(VALU_DEP_1)
	v_sub_nc_u32_e32 v0, v0, v9
	v_add_nc_u32_e32 v8, v30, v0
	global_load_u8 v0, v8, s[4:5]
	s_wait_loadcnt 0x0
	v_cmpx_eq_u16_e32 10, v0
	s_cbranch_execz .LBB1_73
; %bb.72:                               ;   in Loop: Header=BB1_10 Depth=3
	v_dual_ashrrev_i32 v9, 31, v8 :: v_dual_mov_b32 v39, 2
	s_delay_alu instid0(VALU_DEP_1)
	v_add_nc_u64_e32 v[40:41], s[6:7], v[8:9]
	v_add_nc_u64_e32 v[8:9], s[4:5], v[8:9]
	global_load_u16 v42, v[2:3], off
	global_load_u8 v40, v[40:41], off
	s_clause 0x1
	global_store_b8 v[4:5], v39, off
	global_load_u8 v0, v[8:9], off
	s_wait_loadcnt 0x2
	s_wait_xcnt 0x0
	v_or_b32_e32 v8, 4, v42
	s_wait_loadcnt 0x1
	global_store_b8 v[6:7], v40, off
	global_store_b16 v[2:3], v8, off
.LBB1_73:                               ;   in Loop: Header=BB1_10 Depth=3
	s_wait_xcnt 0x0
	s_or_b32 exec_lo, exec_lo, s86
	s_wait_loadcnt 0x0
	v_and_b32_e32 v0, 0xff, v0
	s_mov_b32 s86, exec_lo
	s_delay_alu instid0(VALU_DEP_1)
	v_cmpx_eq_u16_e32 4, v0
	s_cbranch_execz .LBB1_77
; %bb.74:                               ;   in Loop: Header=BB1_10 Depth=3
	v_mov_b32_e32 v0, 2
	s_mov_b32 s87, exec_lo
	v_cmpx_ne_u16_e32 2, v39
	s_cbranch_execz .LBB1_76
; %bb.75:                               ;   in Loop: Header=BB1_10 Depth=3
	v_mov_b32_e32 v0, 3
	global_store_b8 v[4:5], v0, off
.LBB1_76:                               ;   in Loop: Header=BB1_10 Depth=3
	s_wait_xcnt 0x0
	s_or_b32 exec_lo, exec_lo, s87
	global_load_u16 v8, v[2:3], off
	s_wait_loadcnt 0x0
	v_dual_mov_b32 v39, v0 :: v_dual_bitop2_b32 v8, 4, v8 bitop3:0x54
	global_store_b16 v[2:3], v8, off
.LBB1_77:                               ;   in Loop: Header=BB1_10 Depth=3
	s_wait_xcnt 0x0
	s_or_b32 exec_lo, exec_lo, s86
	v_add_nc_u32_e32 v40, s70, v38
	s_mov_b32 s86, exec_lo
	s_delay_alu instid0(VALU_DEP_1) | instskip(NEXT) | instid1(VALU_DEP_1)
	v_sub_nc_u32_e32 v0, 0, v40
	v_max_i32_e32 v0, v40, v0
	s_delay_alu instid0(VALU_DEP_1) | instskip(NEXT) | instid1(VALU_DEP_1)
	v_mul_u64_e32 v[8:9], s[18:19], v[0:1]
	v_mul_lo_u32 v8, v9, s27
	s_delay_alu instid0(VALU_DEP_1) | instskip(SKIP_1) | instid1(VALU_DEP_2)
	v_sub_nc_u32_e32 v0, v0, v8
	v_ashrrev_i32_e32 v9, 31, v40
	v_subrev_nc_u32_e32 v8, s27, v0
	v_cmp_le_u32_e64 s1, s27, v0
	s_delay_alu instid0(VALU_DEP_1) | instskip(NEXT) | instid1(VALU_DEP_1)
	v_cndmask_b32_e64 v0, v0, v8, s1
	v_subrev_nc_u32_e32 v8, s27, v0
	v_cmp_le_u32_e64 s1, s27, v0
	s_delay_alu instid0(VALU_DEP_1) | instskip(NEXT) | instid1(VALU_DEP_1)
	v_cndmask_b32_e64 v0, v0, v8, s1
	v_xor_b32_e32 v0, v0, v9
	s_delay_alu instid0(VALU_DEP_1) | instskip(NEXT) | instid1(VALU_DEP_1)
	v_sub_nc_u32_e32 v0, v0, v9
	v_add_nc_u32_e32 v8, v31, v0
	global_load_u8 v0, v8, s[4:5]
	s_wait_loadcnt 0x0
	v_cmpx_eq_u16_e32 10, v0
	s_cbranch_execz .LBB1_79
; %bb.78:                               ;   in Loop: Header=BB1_10 Depth=3
	v_dual_ashrrev_i32 v9, 31, v8 :: v_dual_mov_b32 v39, 2
	s_delay_alu instid0(VALU_DEP_1)
	v_add_nc_u64_e32 v[40:41], s[6:7], v[8:9]
	v_add_nc_u64_e32 v[8:9], s[4:5], v[8:9]
	global_load_u16 v42, v[2:3], off
	global_load_u8 v40, v[40:41], off
	s_clause 0x1
	global_store_b8 v[4:5], v39, off
	global_load_u8 v0, v[8:9], off
	s_wait_loadcnt 0x2
	s_wait_xcnt 0x0
	v_or_b32_e32 v8, 8, v42
	s_wait_loadcnt 0x1
	global_store_b8 v[6:7], v40, off
	global_store_b16 v[2:3], v8, off
.LBB1_79:                               ;   in Loop: Header=BB1_10 Depth=3
	s_wait_xcnt 0x0
	s_or_b32 exec_lo, exec_lo, s86
	s_wait_loadcnt 0x0
	v_and_b32_e32 v0, 0xff, v0
	s_mov_b32 s86, exec_lo
	s_delay_alu instid0(VALU_DEP_1)
	v_cmpx_eq_u16_e32 4, v0
	s_cbranch_execz .LBB1_83
; %bb.80:                               ;   in Loop: Header=BB1_10 Depth=3
	v_mov_b32_e32 v0, 2
	s_mov_b32 s87, exec_lo
	v_cmpx_ne_u16_e32 2, v39
	s_cbranch_execz .LBB1_82
; %bb.81:                               ;   in Loop: Header=BB1_10 Depth=3
	v_mov_b32_e32 v0, 3
	global_store_b8 v[4:5], v0, off
.LBB1_82:                               ;   in Loop: Header=BB1_10 Depth=3
	s_wait_xcnt 0x0
	s_or_b32 exec_lo, exec_lo, s87
	global_load_u16 v8, v[2:3], off
	s_wait_loadcnt 0x0
	v_dual_mov_b32 v39, v0 :: v_dual_bitop2_b32 v8, 8, v8 bitop3:0x54
	global_store_b16 v[2:3], v8, off
.LBB1_83:                               ;   in Loop: Header=BB1_10 Depth=3
	s_wait_xcnt 0x0
	s_or_b32 exec_lo, exec_lo, s86
	v_add_nc_u32_e32 v40, s69, v38
	s_mov_b32 s86, exec_lo
	s_delay_alu instid0(VALU_DEP_1) | instskip(NEXT) | instid1(VALU_DEP_1)
	v_sub_nc_u32_e32 v0, 0, v40
	v_max_i32_e32 v0, v40, v0
	s_delay_alu instid0(VALU_DEP_1) | instskip(NEXT) | instid1(VALU_DEP_1)
	v_mul_u64_e32 v[8:9], s[18:19], v[0:1]
	v_mul_lo_u32 v8, v9, s27
	s_delay_alu instid0(VALU_DEP_1) | instskip(SKIP_1) | instid1(VALU_DEP_2)
	v_sub_nc_u32_e32 v0, v0, v8
	v_ashrrev_i32_e32 v9, 31, v40
	v_subrev_nc_u32_e32 v8, s27, v0
	v_cmp_le_u32_e64 s1, s27, v0
	s_delay_alu instid0(VALU_DEP_1) | instskip(NEXT) | instid1(VALU_DEP_1)
	v_cndmask_b32_e64 v0, v0, v8, s1
	v_subrev_nc_u32_e32 v8, s27, v0
	v_cmp_le_u32_e64 s1, s27, v0
	s_delay_alu instid0(VALU_DEP_1) | instskip(NEXT) | instid1(VALU_DEP_1)
	v_cndmask_b32_e64 v0, v0, v8, s1
	v_xor_b32_e32 v0, v0, v9
	s_delay_alu instid0(VALU_DEP_1) | instskip(NEXT) | instid1(VALU_DEP_1)
	v_sub_nc_u32_e32 v0, v0, v9
	v_add_nc_u32_e32 v8, v32, v0
	global_load_u8 v0, v8, s[4:5]
	s_wait_loadcnt 0x0
	v_cmpx_eq_u16_e32 10, v0
	s_cbranch_execz .LBB1_85
; %bb.84:                               ;   in Loop: Header=BB1_10 Depth=3
	v_dual_ashrrev_i32 v9, 31, v8 :: v_dual_mov_b32 v39, 2
	s_delay_alu instid0(VALU_DEP_1)
	v_add_nc_u64_e32 v[40:41], s[6:7], v[8:9]
	v_add_nc_u64_e32 v[8:9], s[4:5], v[8:9]
	global_load_u16 v42, v[2:3], off
	global_load_u8 v40, v[40:41], off
	s_clause 0x1
	global_store_b8 v[4:5], v39, off
	global_load_u8 v0, v[8:9], off
	s_wait_loadcnt 0x2
	s_wait_xcnt 0x0
	v_or_b32_e32 v8, 16, v42
	s_wait_loadcnt 0x1
	global_store_b8 v[6:7], v40, off
	global_store_b16 v[2:3], v8, off
.LBB1_85:                               ;   in Loop: Header=BB1_10 Depth=3
	s_wait_xcnt 0x0
	s_or_b32 exec_lo, exec_lo, s86
	s_wait_loadcnt 0x0
	v_and_b32_e32 v0, 0xff, v0
	s_mov_b32 s86, exec_lo
	s_delay_alu instid0(VALU_DEP_1)
	v_cmpx_eq_u16_e32 4, v0
	s_cbranch_execz .LBB1_89
; %bb.86:                               ;   in Loop: Header=BB1_10 Depth=3
	v_mov_b32_e32 v0, 2
	s_mov_b32 s87, exec_lo
	v_cmpx_ne_u16_e32 2, v39
	s_cbranch_execz .LBB1_88
; %bb.87:                               ;   in Loop: Header=BB1_10 Depth=3
	v_mov_b32_e32 v0, 3
	global_store_b8 v[4:5], v0, off
.LBB1_88:                               ;   in Loop: Header=BB1_10 Depth=3
	s_wait_xcnt 0x0
	s_or_b32 exec_lo, exec_lo, s87
	global_load_u16 v8, v[2:3], off
	s_wait_loadcnt 0x0
	v_dual_mov_b32 v39, v0 :: v_dual_bitop2_b32 v8, 16, v8 bitop3:0x54
	global_store_b16 v[2:3], v8, off
.LBB1_89:                               ;   in Loop: Header=BB1_10 Depth=3
	s_wait_xcnt 0x0
	s_or_b32 exec_lo, exec_lo, s86
	v_add_nc_u32_e32 v40, v11, v38
	s_mov_b32 s86, exec_lo
	s_delay_alu instid0(VALU_DEP_1) | instskip(NEXT) | instid1(VALU_DEP_1)
	v_sub_nc_u32_e32 v0, 0, v40
	v_max_i32_e32 v0, v40, v0
	s_delay_alu instid0(VALU_DEP_1) | instskip(NEXT) | instid1(VALU_DEP_1)
	v_mul_u64_e32 v[8:9], s[18:19], v[0:1]
	v_mul_lo_u32 v8, v9, s27
	s_delay_alu instid0(VALU_DEP_1) | instskip(SKIP_1) | instid1(VALU_DEP_2)
	v_sub_nc_u32_e32 v0, v0, v8
	v_ashrrev_i32_e32 v9, 31, v40
	v_subrev_nc_u32_e32 v8, s27, v0
	v_cmp_le_u32_e64 s1, s27, v0
	s_delay_alu instid0(VALU_DEP_1) | instskip(NEXT) | instid1(VALU_DEP_1)
	v_cndmask_b32_e64 v0, v0, v8, s1
	v_subrev_nc_u32_e32 v8, s27, v0
	v_cmp_le_u32_e64 s1, s27, v0
	s_delay_alu instid0(VALU_DEP_1) | instskip(NEXT) | instid1(VALU_DEP_1)
	v_cndmask_b32_e64 v0, v0, v8, s1
	v_xor_b32_e32 v0, v0, v9
	s_delay_alu instid0(VALU_DEP_1) | instskip(NEXT) | instid1(VALU_DEP_1)
	v_sub_nc_u32_e32 v0, v0, v9
	v_add_nc_u32_e32 v8, v33, v0
	global_load_u8 v0, v8, s[4:5]
	s_wait_loadcnt 0x0
	v_cmpx_eq_u16_e32 10, v0
	s_cbranch_execz .LBB1_91
; %bb.90:                               ;   in Loop: Header=BB1_10 Depth=3
	v_dual_ashrrev_i32 v9, 31, v8 :: v_dual_mov_b32 v39, 2
	s_delay_alu instid0(VALU_DEP_1)
	v_add_nc_u64_e32 v[40:41], s[6:7], v[8:9]
	v_add_nc_u64_e32 v[8:9], s[4:5], v[8:9]
	global_load_u16 v42, v[2:3], off
	global_load_u8 v40, v[40:41], off
	s_clause 0x1
	global_store_b8 v[4:5], v39, off
	global_load_u8 v0, v[8:9], off
	s_wait_loadcnt 0x2
	s_wait_xcnt 0x0
	v_or_b32_e32 v8, 32, v42
	s_wait_loadcnt 0x1
	global_store_b8 v[6:7], v40, off
	global_store_b16 v[2:3], v8, off
.LBB1_91:                               ;   in Loop: Header=BB1_10 Depth=3
	s_wait_xcnt 0x0
	s_or_b32 exec_lo, exec_lo, s86
	s_wait_loadcnt 0x0
	v_and_b32_e32 v0, 0xff, v0
	s_mov_b32 s86, exec_lo
	s_delay_alu instid0(VALU_DEP_1)
	v_cmpx_eq_u16_e32 4, v0
	s_cbranch_execz .LBB1_95
; %bb.92:                               ;   in Loop: Header=BB1_10 Depth=3
	v_mov_b32_e32 v0, 2
	s_mov_b32 s87, exec_lo
	v_cmpx_ne_u16_e32 2, v39
	s_cbranch_execz .LBB1_94
; %bb.93:                               ;   in Loop: Header=BB1_10 Depth=3
	v_mov_b32_e32 v0, 3
	global_store_b8 v[4:5], v0, off
.LBB1_94:                               ;   in Loop: Header=BB1_10 Depth=3
	s_wait_xcnt 0x0
	s_or_b32 exec_lo, exec_lo, s87
	global_load_u16 v8, v[2:3], off
	s_wait_loadcnt 0x0
	v_dual_mov_b32 v39, v0 :: v_dual_bitop2_b32 v8, 32, v8 bitop3:0x54
	global_store_b16 v[2:3], v8, off
.LBB1_95:                               ;   in Loop: Header=BB1_10 Depth=3
	s_wait_xcnt 0x0
	s_or_b32 exec_lo, exec_lo, s86
	v_add_nc_u32_e32 v40, v10, v38
	s_mov_b32 s86, exec_lo
	s_delay_alu instid0(VALU_DEP_1) | instskip(NEXT) | instid1(VALU_DEP_1)
	v_sub_nc_u32_e32 v0, 0, v40
	v_max_i32_e32 v0, v40, v0
	s_delay_alu instid0(VALU_DEP_1) | instskip(NEXT) | instid1(VALU_DEP_1)
	v_mul_u64_e32 v[8:9], s[18:19], v[0:1]
	v_mul_lo_u32 v8, v9, s27
	s_delay_alu instid0(VALU_DEP_1) | instskip(SKIP_1) | instid1(VALU_DEP_2)
	v_sub_nc_u32_e32 v0, v0, v8
	v_ashrrev_i32_e32 v9, 31, v40
	v_subrev_nc_u32_e32 v8, s27, v0
	v_cmp_le_u32_e64 s1, s27, v0
	s_delay_alu instid0(VALU_DEP_1) | instskip(NEXT) | instid1(VALU_DEP_1)
	v_cndmask_b32_e64 v0, v0, v8, s1
	v_subrev_nc_u32_e32 v8, s27, v0
	v_cmp_le_u32_e64 s1, s27, v0
	s_delay_alu instid0(VALU_DEP_1) | instskip(NEXT) | instid1(VALU_DEP_1)
	v_cndmask_b32_e64 v0, v0, v8, s1
	v_xor_b32_e32 v0, v0, v9
	s_delay_alu instid0(VALU_DEP_1) | instskip(NEXT) | instid1(VALU_DEP_1)
	v_sub_nc_u32_e32 v0, v0, v9
	v_add_nc_u32_e32 v8, v34, v0
	global_load_u8 v0, v8, s[4:5]
	s_wait_loadcnt 0x0
	v_cmpx_eq_u16_e32 10, v0
	s_cbranch_execz .LBB1_97
; %bb.96:                               ;   in Loop: Header=BB1_10 Depth=3
	v_dual_ashrrev_i32 v9, 31, v8 :: v_dual_mov_b32 v39, 2
	s_delay_alu instid0(VALU_DEP_1)
	v_add_nc_u64_e32 v[40:41], s[6:7], v[8:9]
	v_add_nc_u64_e32 v[8:9], s[4:5], v[8:9]
	global_load_u16 v42, v[2:3], off
	global_load_u8 v40, v[40:41], off
	s_clause 0x1
	global_store_b8 v[4:5], v39, off
	global_load_u8 v0, v[8:9], off
	s_wait_loadcnt 0x2
	s_wait_xcnt 0x0
	v_or_b32_e32 v8, 64, v42
	s_wait_loadcnt 0x1
	global_store_b8 v[6:7], v40, off
	global_store_b16 v[2:3], v8, off
.LBB1_97:                               ;   in Loop: Header=BB1_10 Depth=3
	s_wait_xcnt 0x0
	s_or_b32 exec_lo, exec_lo, s86
	s_wait_loadcnt 0x0
	v_and_b32_e32 v0, 0xff, v0
	s_mov_b32 s86, exec_lo
	s_delay_alu instid0(VALU_DEP_1)
	v_cmpx_eq_u16_e32 4, v0
	s_cbranch_execz .LBB1_101
; %bb.98:                               ;   in Loop: Header=BB1_10 Depth=3
	v_mov_b32_e32 v0, 2
	s_mov_b32 s87, exec_lo
	v_cmpx_ne_u16_e32 2, v39
	s_cbranch_execz .LBB1_100
; %bb.99:                               ;   in Loop: Header=BB1_10 Depth=3
	v_mov_b32_e32 v0, 3
	global_store_b8 v[4:5], v0, off
.LBB1_100:                              ;   in Loop: Header=BB1_10 Depth=3
	s_wait_xcnt 0x0
	s_or_b32 exec_lo, exec_lo, s87
	global_load_u16 v8, v[2:3], off
	s_wait_loadcnt 0x0
	v_dual_mov_b32 v39, v0 :: v_dual_bitop2_b32 v8, 64, v8 bitop3:0x54
	global_store_b16 v[2:3], v8, off
.LBB1_101:                              ;   in Loop: Header=BB1_10 Depth=3
	s_wait_xcnt 0x0
	s_or_b32 exec_lo, exec_lo, s86
	v_add_nc_u32_e32 v40, s28, v38
	s_mov_b32 s86, exec_lo
	s_delay_alu instid0(VALU_DEP_1) | instskip(NEXT) | instid1(VALU_DEP_1)
	v_sub_nc_u32_e32 v0, 0, v40
	v_max_i32_e32 v0, v40, v0
	s_delay_alu instid0(VALU_DEP_1) | instskip(NEXT) | instid1(VALU_DEP_1)
	v_mul_u64_e32 v[8:9], s[18:19], v[0:1]
	v_mul_lo_u32 v8, v9, s27
	s_delay_alu instid0(VALU_DEP_1) | instskip(SKIP_1) | instid1(VALU_DEP_2)
	v_sub_nc_u32_e32 v0, v0, v8
	v_ashrrev_i32_e32 v9, 31, v40
	v_subrev_nc_u32_e32 v8, s27, v0
	v_cmp_le_u32_e64 s1, s27, v0
	s_delay_alu instid0(VALU_DEP_1) | instskip(NEXT) | instid1(VALU_DEP_1)
	v_cndmask_b32_e64 v0, v0, v8, s1
	v_subrev_nc_u32_e32 v8, s27, v0
	v_cmp_le_u32_e64 s1, s27, v0
	s_delay_alu instid0(VALU_DEP_1) | instskip(NEXT) | instid1(VALU_DEP_1)
	v_cndmask_b32_e64 v0, v0, v8, s1
	v_xor_b32_e32 v0, v0, v9
	s_delay_alu instid0(VALU_DEP_1) | instskip(NEXT) | instid1(VALU_DEP_1)
	v_sub_nc_u32_e32 v0, v0, v9
	v_add_nc_u32_e32 v8, v35, v0
	global_load_u8 v0, v8, s[4:5]
	s_wait_loadcnt 0x0
	v_cmpx_eq_u16_e32 10, v0
	s_cbranch_execz .LBB1_103
; %bb.102:                              ;   in Loop: Header=BB1_10 Depth=3
	v_dual_ashrrev_i32 v9, 31, v8 :: v_dual_mov_b32 v39, 2
	s_delay_alu instid0(VALU_DEP_1)
	v_add_nc_u64_e32 v[40:41], s[6:7], v[8:9]
	v_add_nc_u64_e32 v[8:9], s[4:5], v[8:9]
	global_load_u16 v42, v[2:3], off
	global_load_u8 v40, v[40:41], off
	s_clause 0x1
	global_store_b8 v[4:5], v39, off
	global_load_u8 v0, v[8:9], off
	s_wait_loadcnt 0x2
	s_wait_xcnt 0x0
	v_or_b32_e32 v8, 0x80, v42
	s_wait_loadcnt 0x1
	global_store_b8 v[6:7], v40, off
	global_store_b16 v[2:3], v8, off
.LBB1_103:                              ;   in Loop: Header=BB1_10 Depth=3
	s_wait_xcnt 0x0
	s_or_b32 exec_lo, exec_lo, s86
	s_wait_loadcnt 0x0
	v_and_b32_e32 v0, 0xff, v0
	s_mov_b32 s86, exec_lo
	s_delay_alu instid0(VALU_DEP_1)
	v_cmpx_eq_u16_e32 4, v0
	s_cbranch_execz .LBB1_107
; %bb.104:                              ;   in Loop: Header=BB1_10 Depth=3
	v_mov_b32_e32 v0, 2
	s_mov_b32 s87, exec_lo
	v_cmpx_ne_u16_e32 2, v39
	s_cbranch_execz .LBB1_106
; %bb.105:                              ;   in Loop: Header=BB1_10 Depth=3
	v_mov_b32_e32 v0, 3
	global_store_b8 v[4:5], v0, off
.LBB1_106:                              ;   in Loop: Header=BB1_10 Depth=3
	s_wait_xcnt 0x0
	s_or_b32 exec_lo, exec_lo, s87
	global_load_u16 v8, v[2:3], off
	v_mov_b32_e32 v39, v0
	s_wait_loadcnt 0x0
	v_or_b32_e32 v8, 0x80, v8
	global_store_b16 v[2:3], v8, off
.LBB1_107:                              ;   in Loop: Header=BB1_10 Depth=3
	s_wait_xcnt 0x0
	s_or_b32 exec_lo, exec_lo, s86
	v_add_nc_u32_e32 v40, s68, v38
	s_mov_b32 s86, exec_lo
	s_delay_alu instid0(VALU_DEP_1) | instskip(NEXT) | instid1(VALU_DEP_1)
	v_sub_nc_u32_e32 v0, 0, v40
	v_max_i32_e32 v0, v40, v0
	s_delay_alu instid0(VALU_DEP_1) | instskip(NEXT) | instid1(VALU_DEP_1)
	v_mul_u64_e32 v[8:9], s[18:19], v[0:1]
	v_mul_lo_u32 v8, v9, s27
	s_delay_alu instid0(VALU_DEP_1) | instskip(SKIP_1) | instid1(VALU_DEP_2)
	v_sub_nc_u32_e32 v0, v0, v8
	v_ashrrev_i32_e32 v9, 31, v40
	v_subrev_nc_u32_e32 v8, s27, v0
	v_cmp_le_u32_e64 s1, s27, v0
	s_delay_alu instid0(VALU_DEP_1) | instskip(NEXT) | instid1(VALU_DEP_1)
	v_cndmask_b32_e64 v0, v0, v8, s1
	v_subrev_nc_u32_e32 v8, s27, v0
	v_cmp_le_u32_e64 s1, s27, v0
	s_delay_alu instid0(VALU_DEP_1) | instskip(NEXT) | instid1(VALU_DEP_1)
	v_cndmask_b32_e64 v0, v0, v8, s1
	v_xor_b32_e32 v0, v0, v9
	s_delay_alu instid0(VALU_DEP_1) | instskip(NEXT) | instid1(VALU_DEP_1)
	v_sub_nc_u32_e32 v0, v0, v9
	v_add_nc_u32_e32 v8, v36, v0
	global_load_u8 v0, v8, s[4:5]
	s_wait_loadcnt 0x0
	v_cmpx_eq_u16_e32 10, v0
	s_cbranch_execz .LBB1_109
; %bb.108:                              ;   in Loop: Header=BB1_10 Depth=3
	v_dual_ashrrev_i32 v9, 31, v8 :: v_dual_mov_b32 v39, 2
	s_delay_alu instid0(VALU_DEP_1)
	v_add_nc_u64_e32 v[40:41], s[6:7], v[8:9]
	v_add_nc_u64_e32 v[8:9], s[4:5], v[8:9]
	global_load_u16 v42, v[2:3], off
	global_load_u8 v40, v[40:41], off
	s_clause 0x1
	global_store_b8 v[4:5], v39, off
	global_load_u8 v0, v[8:9], off
	s_wait_loadcnt 0x2
	s_wait_xcnt 0x0
	v_or_b32_e32 v8, 0x100, v42
	s_wait_loadcnt 0x1
	global_store_b8 v[6:7], v40, off
	global_store_b16 v[2:3], v8, off
.LBB1_109:                              ;   in Loop: Header=BB1_10 Depth=3
	s_wait_xcnt 0x0
	s_or_b32 exec_lo, exec_lo, s86
	s_wait_loadcnt 0x0
	v_and_b32_e32 v0, 0xff, v0
	s_mov_b32 s86, exec_lo
	s_delay_alu instid0(VALU_DEP_1)
	v_cmpx_eq_u16_e32 4, v0
	s_cbranch_execz .LBB1_113
; %bb.110:                              ;   in Loop: Header=BB1_10 Depth=3
	v_mov_b32_e32 v0, 2
	s_mov_b32 s87, exec_lo
	v_cmpx_ne_u16_e32 2, v39
	s_cbranch_execz .LBB1_112
; %bb.111:                              ;   in Loop: Header=BB1_10 Depth=3
	v_mov_b32_e32 v0, 3
	global_store_b8 v[4:5], v0, off
.LBB1_112:                              ;   in Loop: Header=BB1_10 Depth=3
	s_wait_xcnt 0x0
	s_or_b32 exec_lo, exec_lo, s87
	global_load_u16 v8, v[2:3], off
	v_mov_b32_e32 v39, v0
	s_wait_loadcnt 0x0
	v_or_b32_e32 v8, 0x100, v8
	global_store_b16 v[2:3], v8, off
.LBB1_113:                              ;   in Loop: Header=BB1_10 Depth=3
	s_wait_xcnt 0x0
	s_or_b32 exec_lo, exec_lo, s86
	v_add_nc_u32_e32 v40, s67, v38
	s_mov_b32 s86, exec_lo
	s_delay_alu instid0(VALU_DEP_1) | instskip(NEXT) | instid1(VALU_DEP_1)
	v_sub_nc_u32_e32 v0, 0, v40
	v_max_i32_e32 v0, v40, v0
	s_delay_alu instid0(VALU_DEP_1) | instskip(NEXT) | instid1(VALU_DEP_1)
	v_mul_u64_e32 v[8:9], s[18:19], v[0:1]
	v_mul_lo_u32 v8, v9, s27
	s_delay_alu instid0(VALU_DEP_1) | instskip(SKIP_1) | instid1(VALU_DEP_2)
	v_sub_nc_u32_e32 v0, v0, v8
	v_ashrrev_i32_e32 v9, 31, v40
	v_subrev_nc_u32_e32 v8, s27, v0
	v_cmp_le_u32_e64 s1, s27, v0
	s_delay_alu instid0(VALU_DEP_1) | instskip(NEXT) | instid1(VALU_DEP_1)
	v_cndmask_b32_e64 v0, v0, v8, s1
	v_subrev_nc_u32_e32 v8, s27, v0
	v_cmp_le_u32_e64 s1, s27, v0
	s_delay_alu instid0(VALU_DEP_1) | instskip(NEXT) | instid1(VALU_DEP_1)
	v_cndmask_b32_e64 v0, v0, v8, s1
	v_xor_b32_e32 v0, v0, v9
	s_delay_alu instid0(VALU_DEP_1) | instskip(NEXT) | instid1(VALU_DEP_1)
	v_sub_nc_u32_e32 v0, v0, v9
	v_add_nc_u32_e32 v8, v37, v0
	global_load_u8 v0, v8, s[4:5]
	s_wait_loadcnt 0x0
	v_cmpx_eq_u16_e32 10, v0
	s_cbranch_execz .LBB1_115
; %bb.114:                              ;   in Loop: Header=BB1_10 Depth=3
	v_dual_ashrrev_i32 v9, 31, v8 :: v_dual_mov_b32 v39, 2
	s_delay_alu instid0(VALU_DEP_1)
	v_add_nc_u64_e32 v[40:41], s[6:7], v[8:9]
	v_add_nc_u64_e32 v[8:9], s[4:5], v[8:9]
	global_load_u16 v42, v[2:3], off
	global_load_u8 v40, v[40:41], off
	s_clause 0x1
	global_store_b8 v[4:5], v39, off
	global_load_u8 v0, v[8:9], off
	s_wait_loadcnt 0x2
	s_wait_xcnt 0x0
	v_or_b32_e32 v8, 0x200, v42
	s_wait_loadcnt 0x1
	global_store_b8 v[6:7], v40, off
	global_store_b16 v[2:3], v8, off
.LBB1_115:                              ;   in Loop: Header=BB1_10 Depth=3
	s_wait_xcnt 0x0
	s_or_b32 exec_lo, exec_lo, s86
	s_wait_loadcnt 0x0
	v_and_b32_e32 v0, 0xff, v0
	s_delay_alu instid0(VALU_DEP_1)
	v_cmp_eq_u16_e64 s1, 4, v0
	s_and_b32 exec_lo, exec_lo, s1
	s_cbranch_execz .LBB1_9
; %bb.116:                              ;   in Loop: Header=BB1_10 Depth=3
	s_mov_b32 s86, exec_lo
	v_cmpx_ne_u16_e32 2, v39
	s_cbranch_execz .LBB1_8
; %bb.117:                              ;   in Loop: Header=BB1_10 Depth=3
	global_store_b8 v[4:5], v13, off
	s_branch .LBB1_8
.LBB1_118:
	s_endpgm
	.section	.rodata,"a",@progbits
	.p2align	6, 0x0
	.amdhsa_kernel _Z9find_wallILi19EEvPcS0_Pi5BoxCUi
		.amdhsa_group_segment_fixed_size 0
		.amdhsa_private_segment_fixed_size 0
		.amdhsa_kernarg_size 312
		.amdhsa_user_sgpr_count 2
		.amdhsa_user_sgpr_dispatch_ptr 0
		.amdhsa_user_sgpr_queue_ptr 0
		.amdhsa_user_sgpr_kernarg_segment_ptr 1
		.amdhsa_user_sgpr_dispatch_id 0
		.amdhsa_user_sgpr_kernarg_preload_length 0
		.amdhsa_user_sgpr_kernarg_preload_offset 0
		.amdhsa_user_sgpr_private_segment_size 0
		.amdhsa_wavefront_size32 1
		.amdhsa_uses_dynamic_stack 0
		.amdhsa_enable_private_segment 0
		.amdhsa_system_sgpr_workgroup_id_x 1
		.amdhsa_system_sgpr_workgroup_id_y 1
		.amdhsa_system_sgpr_workgroup_id_z 1
		.amdhsa_system_sgpr_workgroup_info 0
		.amdhsa_system_vgpr_workitem_id 1
		.amdhsa_next_free_vgpr 56
		.amdhsa_next_free_sgpr 105
		.amdhsa_named_barrier_count 0
		.amdhsa_reserve_vcc 1
		.amdhsa_float_round_mode_32 0
		.amdhsa_float_round_mode_16_64 0
		.amdhsa_float_denorm_mode_32 3
		.amdhsa_float_denorm_mode_16_64 3
		.amdhsa_fp16_overflow 0
		.amdhsa_memory_ordered 1
		.amdhsa_forward_progress 1
		.amdhsa_inst_pref_size 92
		.amdhsa_round_robin_scheduling 0
		.amdhsa_exception_fp_ieee_invalid_op 0
		.amdhsa_exception_fp_denorm_src 0
		.amdhsa_exception_fp_ieee_div_zero 0
		.amdhsa_exception_fp_ieee_overflow 0
		.amdhsa_exception_fp_ieee_underflow 0
		.amdhsa_exception_fp_ieee_inexact 0
		.amdhsa_exception_int_div_zero 0
	.end_amdhsa_kernel
	.section	.text._Z9find_wallILi19EEvPcS0_Pi5BoxCUi,"axG",@progbits,_Z9find_wallILi19EEvPcS0_Pi5BoxCUi,comdat
.Lfunc_end1:
	.size	_Z9find_wallILi19EEvPcS0_Pi5BoxCUi, .Lfunc_end1-_Z9find_wallILi19EEvPcS0_Pi5BoxCUi
                                        ; -- End function
	.set _Z9find_wallILi19EEvPcS0_Pi5BoxCUi.num_vgpr, 56
	.set _Z9find_wallILi19EEvPcS0_Pi5BoxCUi.num_agpr, 0
	.set _Z9find_wallILi19EEvPcS0_Pi5BoxCUi.numbered_sgpr, 105
	.set _Z9find_wallILi19EEvPcS0_Pi5BoxCUi.num_named_barrier, 0
	.set _Z9find_wallILi19EEvPcS0_Pi5BoxCUi.private_seg_size, 0
	.set _Z9find_wallILi19EEvPcS0_Pi5BoxCUi.uses_vcc, 1
	.set _Z9find_wallILi19EEvPcS0_Pi5BoxCUi.uses_flat_scratch, 0
	.set _Z9find_wallILi19EEvPcS0_Pi5BoxCUi.has_dyn_sized_stack, 0
	.set _Z9find_wallILi19EEvPcS0_Pi5BoxCUi.has_recursion, 0
	.set _Z9find_wallILi19EEvPcS0_Pi5BoxCUi.has_indirect_call, 0
	.section	.AMDGPU.csdata,"",@progbits
; Kernel info:
; codeLenInByte = 11676
; TotalNumSgprs: 107
; NumVgprs: 56
; ScratchSize: 0
; MemoryBound: 0
; FloatMode: 240
; IeeeMode: 1
; LDSByteSize: 0 bytes/workgroup (compile time only)
; SGPRBlocks: 0
; VGPRBlocks: 3
; NumSGPRsForWavesPerEU: 107
; NumVGPRsForWavesPerEU: 56
; NamedBarCnt: 0
; Occupancy: 16
; WaveLimiterHint : 0
; COMPUTE_PGM_RSRC2:SCRATCH_EN: 0
; COMPUTE_PGM_RSRC2:USER_SGPR: 2
; COMPUTE_PGM_RSRC2:TRAP_HANDLER: 0
; COMPUTE_PGM_RSRC2:TGID_X_EN: 1
; COMPUTE_PGM_RSRC2:TGID_Y_EN: 1
; COMPUTE_PGM_RSRC2:TGID_Z_EN: 1
; COMPUTE_PGM_RSRC2:TIDIG_COMP_CNT: 1
	.section	.text._Z15init_velocity_gIL12lattice_type19EEv8lbm_vars5BoxCUS2_dfffd,"axG",@progbits,_Z15init_velocity_gIL12lattice_type19EEv8lbm_vars5BoxCUS2_dfffd,comdat
	.protected	_Z15init_velocity_gIL12lattice_type19EEv8lbm_vars5BoxCUS2_dfffd ; -- Begin function _Z15init_velocity_gIL12lattice_type19EEv8lbm_vars5BoxCUS2_dfffd
	.globl	_Z15init_velocity_gIL12lattice_type19EEv8lbm_vars5BoxCUS2_dfffd
	.p2align	8
	.type	_Z15init_velocity_gIL12lattice_type19EEv8lbm_vars5BoxCUS2_dfffd,@function
_Z15init_velocity_gIL12lattice_type19EEv8lbm_vars5BoxCUS2_dfffd: ; @_Z15init_velocity_gIL12lattice_type19EEv8lbm_vars5BoxCUS2_dfffd
; %bb.0:
	s_load_b32 s19, s[0:1], 0x8c
	s_bfe_u32 s2, ttmp6, 0x40014
	s_lshr_b32 s3, ttmp7, 16
	s_add_co_i32 s2, s2, 1
	s_bfe_u32 s5, ttmp6, 0x40008
	s_mul_i32 s2, s3, s2
	s_getreg_b32 s4, hwreg(HW_REG_IB_STS2, 6, 4)
	s_add_co_i32 s5, s5, s2
	s_cmp_eq_u32 s4, 0
	s_cselect_b32 s33, s3, s5
	s_mov_b32 s3, 0
	s_wait_kmcnt 0x0
	s_cmp_ge_i32 s33, s19
	s_cbranch_scc1 .LBB2_9
; %bb.1:
	s_clause 0x2
	s_load_b64 s[20:21], s[0:1], 0xc0
	s_load_b64 s[22:23], s[0:1], 0xcc
	s_load_u16 s2, s[0:1], 0xd6
	s_mov_b64 s[6:7], 0x4042000000000000
	s_clause 0x1
	s_load_b96 s[16:18], s[0:1], 0xb0
	s_load_b64 s[36:37], s[0:1], 0xa0
	s_bfe_u32 s8, ttmp6, 0x40010
	s_and_b32 s5, ttmp6, 15
	s_add_co_i32 s8, s8, 1
	s_bfe_u32 s9, ttmp6, 0x40004
	s_add_nc_u64 s[38:39], s[0:1], 0x78
	v_bfe_u32 v1, v0, 10, 10
	s_add_nc_u64 s[26:27], s[0:1], 0xc8
	s_mov_b32 s29, s3
	s_mov_b32 s31, s3
	s_wait_kmcnt 0x0
	v_div_scale_f64 v[6:7], null, s[6:7], s[6:7], s[20:21]
	v_div_scale_f64 v[8:9], vcc_lo, s[20:21], 0x40420000, s[20:21]
	s_bfe_u32 s6, ttmp6, 0x4000c
	s_and_b32 s7, ttmp7, 0xffff
	s_add_co_i32 s6, s6, 1
	s_mul_i32 s8, s7, s8
	s_mul_i32 s6, ttmp9, s6
	s_add_co_i32 s9, s9, s8
	s_add_co_i32 s5, s5, s6
	s_cmp_eq_u32 s4, 0
	s_sub_f32 s6, s17, s16
	s_cselect_b32 s28, s7, s9
	s_cselect_b32 s44, ttmp9, s5
	s_xor_b32 s4, s16, 0x80000000
	s_xor_b32 s5, s17, 0x80000000
	s_sub_f32 s7, s18, s16
	s_sub_f32 s8, s18, s17
	s_sub_f32 s9, s4, s17
	s_sub_f32 s4, s4, s18
	s_mul_f32 s6, s6, 0x40400000
	s_sub_f32 s5, s5, s18
	s_mul_f32 s7, s7, 0x40400000
	s_mul_f32 s8, s8, 0x40400000
	v_cvt_f64_f32_e32 v[22:23], s6
	s_mul_f32 s6, s9, 0x40400000
	s_mul_f32 s4, s4, 0x40400000
	;; [unrolled: 1-line block ×3, first 2 shown]
	v_cvt_f64_f32_e32 v[26:27], s7
	v_cvt_f64_f32_e32 v[30:31], s8
	;; [unrolled: 1-line block ×3, first 2 shown]
	v_rcp_f64_e32 v[2:3], v[6:7]
	v_cvt_f64_f32_e32 v[24:25], s4
	v_cvt_f64_f32_e32 v[28:29], s5
	s_mul_f32 s4, s16, 0xc0400000
	s_fmamk_f32 s5, s16, 0xc0400000, 1.0
	s_mul_f32 s6, s17, 0xc0400000
	s_mul_f32 s8, s18, 0xc0400000
	s_fmamk_f32 s7, s17, 0xc0400000, 1.0
	s_fmamk_f32 s9, s18, 0xc0400000, 1.0
	v_cvt_f64_f32_e32 v[12:13], s5
	s_mul_f32 s4, s4, s4
	s_mul_f32 s5, s6, s6
	;; [unrolled: 1-line block ×3, first 2 shown]
	v_cvt_f64_f32_e32 v[14:15], s7
	v_cvt_f64_f32_e32 v[16:17], s9
	;; [unrolled: 1-line block ×3, first 2 shown]
	s_mul_f32 s4, s17, s17
	s_abs_i32 s49, s37
	s_mul_i32 s22, s22, s2
	s_abs_i32 s45, s19
	s_fmac_f32 s4, s16, s16
	s_cvt_f32_u32 s41, s45
	s_delay_alu instid0(SALU_CYCLE_2) | instskip(SKIP_1) | instid1(SALU_CYCLE_1)
	s_fmac_f32 s4, s18, s18
	v_mul_f64_e32 v[40:41], v[22:23], v[22:23]
	v_rcp_iflag_f32_e32 v54, s41
	s_delay_alu instid0(SALU_CYCLE_1)
	s_mul_f32 s4, s4, 0x40400000
	v_mul_f64_e32 v[42:43], v[26:27], v[26:27]
	v_add_f64_e32 v[10:11], 1.0, v[30:31]
	v_mul_f64_e32 v[44:45], v[30:31], v[30:31]
	v_add_f64_e32 v[18:19], 1.0, v[20:21]
	;; [unrolled: 2-line block ×4, first 2 shown]
	v_mul_f64_e32 v[50:51], v[28:29], v[28:29]
	s_delay_alu instid0(TRANS32_DEP_2)
	v_fma_f64 v[4:5], -v[6:7], v[2:3], 1.0
	v_cvt_f64_f32_e32 v[52:53], s4
	v_fmac_f64_e32 v[12:13], 0.5, v[38:39]
	v_fmac_f64_e32 v[10:11], 0.5, v[44:45]
	v_cvt_f64_f32_e32 v[44:45], s17
	v_fmac_f64_e32 v[18:19], 0.5, v[46:47]
	v_cvt_f64_f32_e32 v[46:47], s18
	v_fmac_f64_e32 v[32:33], 0.5, v[48:49]
	v_fmac_f64_e32 v[34:35], 0.5, v[50:51]
	v_fmac_f64_e32 v[2:3], v[2:3], v[4:5]
	v_fma_f64 v[48:49], v[52:53], -0.5, 1.0
	v_fmac_f64_e32 v[12:13], -0.5, v[52:53]
	v_fmac_f64_e32 v[10:11], -0.5, v[52:53]
	;; [unrolled: 1-line block ×5, first 2 shown]
	v_fma_f64 v[4:5], -v[6:7], v[2:3], 1.0
	s_delay_alu instid0(VALU_DEP_1) | instskip(NEXT) | instid1(VALU_DEP_1)
	v_fmac_f64_e32 v[2:3], v[2:3], v[4:5]
	v_mul_f64_e32 v[4:5], v[8:9], v[2:3]
	s_delay_alu instid0(VALU_DEP_1) | instskip(SKIP_2) | instid1(VALU_DEP_3)
	v_fma_f64 v[36:37], -v[6:7], v[4:5], v[8:9]
	v_add_f64_e32 v[6:7], 1.0, v[22:23]
	v_add_f64_e32 v[8:9], 1.0, v[26:27]
	v_div_fmas_f64 v[2:3], v[36:37], v[2:3], v[4:5]
	v_cvt_f64_f32_e32 v[4:5], s5
	v_cvt_f64_f32_e32 v[36:37], s6
	v_fmac_f64_e32 v[6:7], 0.5, v[40:41]
	v_fmac_f64_e32 v[8:9], 0.5, v[42:43]
	s_clause 0x9
	s_load_b128 s[4:7], s[0:1], 0x48
	s_load_b64 s[24:25], s[0:1], 0x58
	s_load_b128 s[8:11], s[0:1], 0x90
	s_load_b32 s30, s[0:1], 0x88
	s_load_b32 s40, s[0:1], 0x80
	;; [unrolled: 1-line block ×3, first 2 shown]
	s_load_b128 s[12:15], s[0:1], 0x18
	s_load_b64 s[34:35], s[0:1], 0x28
	s_load_b32 s46, s[38:39], 0x4
	s_load_b32 s47, s[38:39], 0xc
	v_and_b32_e32 v40, 0x3ff, v0
	v_mad_u32 v41, s28, s2, v1
	v_cvt_f64_f32_e32 v[42:43], s16
	s_cvt_f32_u32 s2, s49
	s_delay_alu instid0(SALU_CYCLE_3)
	v_rcp_iflag_f32_e32 v56, s2
	s_wait_kmcnt 0x0
	s_abs_i32 s48, s11
	s_add_co_i32 s30, s30, s37
	s_cvt_f32_u32 s0, s48
	s_abs_i32 s50, s9
	s_abs_i32 s52, s47
	s_sub_co_i32 s51, s30, s36
	s_cvt_f32_u32 s28, s52
	v_rcp_iflag_f32_e32 v55, s0
	v_readfirstlane_b32 s36, v56
	s_cvt_f32_u32 s2, s50
	v_div_fixup_f64 v[38:39], v[2:3], 0x40420000, s[20:21]
	v_fmac_f64_e32 v[14:15], 0.5, v[4:5]
	v_fmac_f64_e32 v[16:17], 0.5, v[36:37]
	v_fmac_f64_e32 v[6:7], -0.5, v[52:53]
	v_fmac_f64_e32 v[8:9], -0.5, v[52:53]
	v_rcp_iflag_f32_e32 v57, s28
	v_nop
	v_readfirstlane_b32 s28, v55
	s_abs_i32 s53, s46
	v_readfirstlane_b32 s0, v54
	s_mul_f32 s36, s36, 0x4f7ffffe
	s_cvt_f32_u32 s39, s53
	s_mul_f32 s28, s28, 0x4f7ffffe
	v_readfirstlane_b32 s38, v57
	s_sub_co_i32 s1, 0, s48
	s_cvt_u32_f32 s36, s36
	s_cvt_u32_f32 s28, s28
	s_mul_f32 s0, s0, 0x4f7ffffe
	s_sub_co_i32 s30, 0, s49
	s_sub_co_i32 s37, 0, s52
	s_mul_i32 s1, s1, s28
	s_mul_i32 s30, s30, s36
	s_mul_hi_u32 s1, s28, s1
	s_cvt_u32_f32 s0, s0
	s_mul_hi_u32 s30, s36, s30
	s_add_co_i32 s28, s28, s1
	s_add_co_i32 s30, s36, s30
	;; [unrolled: 1-line block ×3, first 2 shown]
	v_cmp_gt_i32_e32 vcc_lo, s47, v41
	s_sub_co_i32 s10, s40, s10
	s_sub_co_i32 s40, 0, s53
	v_add_f64_e32 v[36:37], v[38:39], v[38:39]
	v_fmac_f64_e32 v[14:15], -0.5, v[52:53]
	v_fmac_f64_e32 v[16:17], -0.5, v[52:53]
	v_mul_f64_e32 v[50:51], 0x40280000, v[38:39]
	v_mul_f64_e32 v[0:1], v[38:39], v[18:19]
	;; [unrolled: 1-line block ×7, first 2 shown]
	v_rcp_iflag_f32_e32 v38, s2
	s_mul_f32 s2, s38, 0x4f7ffffe
	v_rcp_iflag_f32_e32 v39, s39
	s_delay_alu instid0(SALU_CYCLE_2) | instskip(NEXT) | instid1(TRANS32_DEP_2)
	s_cvt_u32_f32 s2, s2
	v_readfirstlane_b32 s38, v38
	s_delay_alu instid0(SALU_CYCLE_2) | instskip(NEXT) | instid1(SALU_CYCLE_1)
	s_mul_i32 s37, s37, s2
	s_mul_hi_u32 s1, s2, s37
	s_sub_co_i32 s37, 0, s45
	s_add_co_i32 s36, s2, s1
	v_readfirstlane_b32 s1, v39
	s_mul_i32 s37, s37, s0
	s_mul_f32 s39, s38, 0x4f7ffffe
	s_mul_hi_u32 s2, s0, s37
	v_mov_b32_e32 v39, 0
	s_add_co_i32 s38, s0, s2
	s_mul_f32 s0, s1, 0x4f7ffffe
	s_cvt_u32_f32 s1, s39
	v_mul_f64_e32 v[12:13], v[36:37], v[12:13]
	v_mul_f64_e32 v[14:15], v[36:37], v[14:15]
	;; [unrolled: 1-line block ×4, first 2 shown]
	v_fma_f64 v[20:21], -v[36:37], v[20:21], v[0:1]
	v_fma_f64 v[22:23], -v[36:37], v[22:23], v[2:3]
	;; [unrolled: 1-line block ×6, first 2 shown]
	s_sub_co_i32 s2, 0, s50
	s_cvt_u32_f32 s0, s0
	s_mul_i32 s2, s2, s1
	s_mov_b32 s37, s3
	s_mul_hi_u32 s2, s1, s2
	s_mul_i32 s41, s40, s0
	s_add_co_i32 s40, s1, s2
	s_mul_hi_u32 s1, s0, s41
	s_mov_b32 s39, s3
	s_add_co_i32 s42, s0, s1
	s_add_co_i32 s0, s9, s43
	s_mov_b32 s41, s3
	s_mov_b32 s43, s3
	s_sub_co_i32 s8, s0, s8
	v_fma_f64 v[32:33], v[50:51], v[42:43], v[12:13]
	v_fma_f64 v[34:35], v[50:51], v[44:45], v[14:15]
	;; [unrolled: 1-line block ×3, first 2 shown]
	s_branch .LBB2_3
.LBB2_2:                                ;   in Loop: Header=BB2_3 Depth=1
	s_or_b32 exec_lo, exec_lo, s54
	s_add_co_i32 s33, s23, s33
	s_delay_alu instid0(SALU_CYCLE_1)
	s_cmp_ge_i32 s33, s19
	s_cbranch_scc1 .LBB2_9
.LBB2_3:                                ; =>This Loop Header: Depth=1
                                        ;     Child Loop BB2_6 Depth 2
                                        ;       Child Loop BB2_8 Depth 3
	s_and_saveexec_b32 s54, vcc_lo
	s_cbranch_execz .LBB2_2
; %bb.4:                                ;   in Loop: Header=BB2_3 Depth=1
	s_clause 0x1
	s_load_b32 s55, s[26:27], 0xc
	s_load_b32 s58, s[26:27], 0x0
	s_add_co_i32 s56, s33, s51
	s_add_co_i32 s57, s33, s19
	s_abs_i32 s2, s56
	s_ashr_i32 s56, s56, 31
	s_mul_u64 s[0:1], s[2:3], s[30:31]
	v_mov_b32_e32 v43, v41
	s_mul_i32 s0, s1, s49
	s_mov_b32 s75, 0
	s_sub_co_i32 s0, s2, s0
	s_delay_alu instid0(SALU_CYCLE_1)
	s_sub_co_i32 s1, s0, s49
	s_wait_kmcnt 0x0
	s_and_b32 s55, s55, 0xffff
	s_cmp_ge_u32 s0, s49
	v_mad_u32 v42, s44, s55, v40
	s_cselect_b32 s0, s1, s0
	s_delay_alu instid0(SALU_CYCLE_1)
	s_sub_co_i32 s1, s0, s49
	s_cmp_ge_u32 s0, s49
	s_cselect_b32 s59, s1, s0
	s_abs_i32 s2, s57
	s_ashr_i32 s57, s57, 31
	s_mul_u64 s[0:1], s[2:3], s[38:39]
	s_delay_alu instid0(SALU_CYCLE_1)
	s_mul_i32 s0, s1, s45
	s_xor_b32 s1, s59, s56
	s_sub_co_i32 s0, s2, s0
	s_sub_co_i32 s1, s1, s56
	;; [unrolled: 1-line block ×3, first 2 shown]
	s_cmp_ge_u32 s0, s45
	s_cselect_b32 s0, s2, s0
	s_delay_alu instid0(SALU_CYCLE_1)
	s_sub_co_i32 s2, s0, s45
	s_cmp_ge_u32 s0, s45
	s_cselect_b32 s0, s2, s0
	s_mul_i32 s2, s58, s55
	s_xor_b32 s55, s0, s57
	v_cmp_gt_i32_e64 s0, s46, v42
	s_sub_co_i32 s56, s55, s57
	s_mul_i32 s55, s1, s11
	s_add_co_i32 s1, s56, s19
	s_mul_i32 s56, s56, s47
	s_add_co_i32 s58, s1, s19
	;; [unrolled: 2-line block ×18, first 2 shown]
	s_mul_i32 s73, s1, s47
	s_mul_i32 s74, s74, s47
	s_branch .LBB2_6
.LBB2_5:                                ;   in Loop: Header=BB2_6 Depth=2
	s_or_b32 exec_lo, exec_lo, s76
	v_add_nc_u32_e32 v43, s22, v43
	s_delay_alu instid0(VALU_DEP_1) | instskip(SKIP_1) | instid1(SALU_CYCLE_1)
	v_cmp_le_i32_e64 s1, s47, v43
	s_or_b32 s75, s1, s75
	s_and_not1_b32 exec_lo, exec_lo, s75
	s_cbranch_execz .LBB2_2
.LBB2_6:                                ;   Parent Loop BB2_3 Depth=1
                                        ; =>  This Loop Header: Depth=2
                                        ;       Child Loop BB2_8 Depth 3
	s_and_saveexec_b32 s76, s0
	s_cbranch_execz .LBB2_5
; %bb.7:                                ;   in Loop: Header=BB2_6 Depth=2
	v_dual_add_nc_u32 v46, s10, v43 :: v_dual_add_nc_u32 v47, s47, v43
	s_mov_b32 s77, 0
	s_delay_alu instid0(VALU_DEP_1) | instskip(NEXT) | instid1(VALU_DEP_1)
	v_dual_mov_b32 v64, v42 :: v_dual_sub_nc_u32 v38, 0, v46
	v_max_i32_e32 v38, v46, v38
	s_delay_alu instid0(VALU_DEP_1) | instskip(NEXT) | instid1(VALU_DEP_1)
	v_mul_u64_e32 v[44:45], s[28:29], v[38:39]
	v_mul_lo_u32 v44, v45, s48
	s_delay_alu instid0(VALU_DEP_1) | instskip(NEXT) | instid1(VALU_DEP_1)
	v_dual_sub_nc_u32 v45, 0, v47 :: v_dual_sub_nc_u32 v48, v38, v44
	v_max_i32_e32 v38, v47, v45
	s_delay_alu instid0(VALU_DEP_2) | instskip(NEXT) | instid1(VALU_DEP_2)
	v_cmp_le_u32_e64 s1, s48, v48
	v_mul_u64_e32 v[44:45], s[36:37], v[38:39]
	s_delay_alu instid0(VALU_DEP_1) | instskip(SKIP_1) | instid1(VALU_DEP_1)
	v_mul_lo_u32 v44, v45, s52
	v_subrev_nc_u32_e32 v45, s48, v48
	v_dual_sub_nc_u32 v38, v38, v44 :: v_dual_cndmask_b32 v44, v48, v45, s1
	s_delay_alu instid0(VALU_DEP_1) | instskip(SKIP_1) | instid1(VALU_DEP_3)
	v_subrev_nc_u32_e32 v45, s52, v38
	v_cmp_le_u32_e64 s1, s52, v38
	v_subrev_nc_u32_e32 v48, s48, v44
	s_delay_alu instid0(VALU_DEP_2) | instskip(SKIP_1) | instid1(VALU_DEP_1)
	v_cndmask_b32_e64 v38, v38, v45, s1
	v_cmp_le_u32_e64 s1, s48, v44
	v_dual_ashrrev_i32 v45, 31, v46 :: v_dual_cndmask_b32 v44, v44, v48, s1
	s_delay_alu instid0(VALU_DEP_3) | instskip(SKIP_1) | instid1(VALU_DEP_3)
	v_subrev_nc_u32_e32 v46, s52, v38
	v_cmp_le_u32_e64 s1, s52, v38
	v_dual_ashrrev_i32 v47, 31, v47 :: v_dual_bitop2_b32 v44, v44, v45 bitop3:0x14
	s_delay_alu instid0(VALU_DEP_1) | instskip(NEXT) | instid1(VALU_DEP_1)
	v_dual_cndmask_b32 v38, v38, v46, s1 :: v_dual_sub_nc_u32 v44, v44, v45
	v_dual_add_nc_u32 v44, s55, v44 :: v_dual_bitop2_b32 v38, v38, v47 bitop3:0x14
	s_delay_alu instid0(VALU_DEP_1) | instskip(NEXT) | instid1(VALU_DEP_2)
	v_sub_nc_u32_e32 v38, v38, v47
	v_mul_lo_u32 v44, v44, s9
	s_delay_alu instid0(VALU_DEP_2)
	v_dual_add_nc_u32 v45, s56, v38 :: v_dual_add_nc_u32 v46, s57, v38
	v_dual_add_nc_u32 v47, s58, v38 :: v_dual_add_nc_u32 v48, s59, v38
	;; [unrolled: 1-line block ×9, first 2 shown]
	v_add_nc_u32_e32 v38, s74, v38
	v_mul_lo_u32 v45, v45, s46
	v_mul_lo_u32 v46, v46, s46
	;; [unrolled: 1-line block ×19, first 2 shown]
.LBB2_8:                                ;   Parent Loop BB2_3 Depth=1
                                        ;     Parent Loop BB2_6 Depth=2
                                        ; =>    This Inner Loop Header: Depth=3
	v_dual_mov_b32 v65, s16 :: v_dual_add_nc_u32 v38, s8, v64
	v_dual_mov_b32 v70, s17 :: v_dual_add_nc_u32 v71, s46, v64
	v_dual_mov_b32 v72, s18 :: v_dual_add_nc_u32 v64, s2, v64
	s_delay_alu instid0(VALU_DEP_3) | instskip(NEXT) | instid1(VALU_DEP_3)
	v_dual_sub_nc_u32 v68, 0, v38 :: v_dual_ashrrev_i32 v73, 31, v38
	v_dual_sub_nc_u32 v74, 0, v71 :: v_dual_ashrrev_i32 v75, 31, v71
	s_delay_alu instid0(VALU_DEP_3) | instskip(NEXT) | instid1(VALU_DEP_3)
	v_cmp_le_i32_e64 s1, s46, v64
	v_max_i32_e32 v38, v38, v68
	v_mov_b64_e32 v[66:67], s[20:21]
	s_or_b32 s77, s1, s77
	s_delay_alu instid0(VALU_DEP_2) | instskip(NEXT) | instid1(VALU_DEP_1)
	v_mul_u64_e32 v[68:69], s[40:41], v[38:39]
	v_mul_lo_u32 v68, v69, s50
	s_delay_alu instid0(VALU_DEP_1) | instskip(NEXT) | instid1(VALU_DEP_1)
	v_dual_sub_nc_u32 v76, v38, v68 :: v_dual_max_i32 v38, v71, v74
	v_cmp_le_u32_e64 s1, s50, v76
	s_delay_alu instid0(VALU_DEP_2) | instskip(SKIP_1) | instid1(VALU_DEP_1)
	v_mul_u64_e32 v[68:69], s[42:43], v[38:39]
	v_subrev_nc_u32_e32 v68, s50, v76
	v_cndmask_b32_e64 v68, v76, v68, s1
	s_delay_alu instid0(VALU_DEP_1) | instskip(SKIP_2) | instid1(VALU_DEP_1)
	v_subrev_nc_u32_e32 v71, s50, v68
	v_cmp_le_u32_e64 s1, s50, v68
	v_mul_lo_u32 v69, v69, s53
	v_dual_cndmask_b32 v68, v68, v71, s1 :: v_dual_sub_nc_u32 v38, v38, v69
	s_delay_alu instid0(VALU_DEP_1) | instskip(NEXT) | instid1(VALU_DEP_2)
	v_xor_b32_e32 v68, v68, v73
	v_cmp_le_u32_e64 s1, s53, v38
	s_delay_alu instid0(VALU_DEP_2) | instskip(NEXT) | instid1(VALU_DEP_1)
	v_sub_nc_u32_e32 v68, v68, v73
	v_add_nc_u32_e32 v68, v44, v68
	s_clause 0x3
	global_store_b64 v68, v[66:67], s[4:5] scale_offset
	global_store_b32 v68, v65, s[12:13] scale_offset
	global_store_b32 v68, v70, s[14:15] scale_offset
	;; [unrolled: 1-line block ×3, first 2 shown]
	s_wait_xcnt 0x2
	v_subrev_nc_u32_e32 v65, s53, v38
	s_delay_alu instid0(VALU_DEP_1) | instskip(NEXT) | instid1(VALU_DEP_1)
	v_cndmask_b32_e64 v38, v38, v65, s1
	v_subrev_nc_u32_e32 v65, s53, v38
	v_cmp_le_u32_e64 s1, s53, v38
	s_delay_alu instid0(VALU_DEP_1) | instskip(NEXT) | instid1(VALU_DEP_1)
	v_cndmask_b32_e64 v38, v38, v65, s1
	v_xor_b32_e32 v38, v38, v75
	s_delay_alu instid0(VALU_DEP_1) | instskip(NEXT) | instid1(VALU_DEP_1)
	v_sub_nc_u32_e32 v38, v38, v75
	v_dual_add_nc_u32 v65, v45, v38 :: v_dual_add_nc_u32 v66, v46, v38
	s_wait_xcnt 0x0
	v_dual_add_nc_u32 v67, v47, v38 :: v_dual_add_nc_u32 v68, v48, v38
	v_dual_add_nc_u32 v69, v49, v38 :: v_dual_add_nc_u32 v70, v50, v38
	;; [unrolled: 1-line block ×6, first 2 shown]
	s_clause 0x1
	global_store_b64 v65, v[18:19], s[6:7] scale_offset
	global_store_b64 v65, v[18:19], s[24:25] scale_offset
	s_wait_xcnt 0x0
	v_add_nc_u32_e32 v65, v59, v38
	s_clause 0x1
	global_store_b64 v66, v[12:13], s[6:7] scale_offset
	global_store_b64 v66, v[12:13], s[24:25] scale_offset
	s_wait_xcnt 0x0
	v_add_nc_u32_e32 v66, v60, v38
	;; [unrolled: 5-line block ×3, first 2 shown]
	s_clause 0x1
	global_store_b64 v68, v[16:17], s[6:7] scale_offset
	global_store_b64 v68, v[16:17], s[24:25] scale_offset
	s_wait_xcnt 0x0
	v_dual_add_nc_u32 v68, v62, v38 :: v_dual_add_nc_u32 v38, v63, v38
	s_clause 0x1
	global_store_b64 v69, v[0:1], s[6:7] scale_offset
	global_store_b64 v69, v[0:1], s[24:25] scale_offset
	s_clause 0x1
	global_store_b64 v70, v[2:3], s[6:7] scale_offset
	global_store_b64 v70, v[2:3], s[24:25] scale_offset
	s_clause 0x1
	global_store_b64 v71, v[4:5], s[6:7] scale_offset
	global_store_b64 v71, v[4:5], s[24:25] scale_offset
	s_clause 0x1
	global_store_b64 v72, v[6:7], s[6:7] scale_offset
	global_store_b64 v72, v[6:7], s[24:25] scale_offset
	s_clause 0x1
	global_store_b64 v73, v[8:9], s[6:7] scale_offset
	global_store_b64 v73, v[8:9], s[24:25] scale_offset
	s_clause 0x1
	global_store_b64 v74, v[10:11], s[6:7] scale_offset
	global_store_b64 v74, v[10:11], s[24:25] scale_offset
	s_clause 0x1
	global_store_b64 v75, v[32:33], s[6:7] scale_offset
	global_store_b64 v75, v[32:33], s[24:25] scale_offset
	s_clause 0x1
	global_store_b64 v76, v[34:35], s[6:7] scale_offset
	global_store_b64 v76, v[34:35], s[24:25] scale_offset
	s_clause 0x1
	global_store_b64 v77, v[36:37], s[6:7] scale_offset
	global_store_b64 v77, v[36:37], s[24:25] scale_offset
	s_clause 0x1
	global_store_b64 v78, v[20:21], s[6:7] scale_offset
	global_store_b64 v78, v[20:21], s[24:25] scale_offset
	s_clause 0x1
	global_store_b64 v65, v[22:23], s[6:7] scale_offset
	global_store_b64 v65, v[22:23], s[24:25] scale_offset
	s_clause 0x1
	global_store_b64 v66, v[24:25], s[6:7] scale_offset
	global_store_b64 v66, v[24:25], s[24:25] scale_offset
	s_clause 0x1
	global_store_b64 v67, v[26:27], s[6:7] scale_offset
	global_store_b64 v67, v[26:27], s[24:25] scale_offset
	s_clause 0x1
	global_store_b64 v68, v[28:29], s[6:7] scale_offset
	global_store_b64 v68, v[28:29], s[24:25] scale_offset
	s_clause 0x1
	global_store_b64 v38, v[30:31], s[6:7] scale_offset
	global_store_b64 v38, v[30:31], s[24:25] scale_offset
	s_wait_xcnt 0x0
	s_and_not1_b32 exec_lo, exec_lo, s77
	s_cbranch_execnz .LBB2_8
	s_branch .LBB2_5
.LBB2_9:
	s_sendmsg sendmsg(MSG_DEALLOC_VGPRS)
	s_endpgm
	.section	.rodata,"a",@progbits
	.p2align	6, 0x0
	.amdhsa_kernel _Z15init_velocity_gIL12lattice_type19EEv8lbm_vars5BoxCUS2_dfffd
		.amdhsa_group_segment_fixed_size 0
		.amdhsa_private_segment_fixed_size 0
		.amdhsa_kernarg_size 456
		.amdhsa_user_sgpr_count 2
		.amdhsa_user_sgpr_dispatch_ptr 0
		.amdhsa_user_sgpr_queue_ptr 0
		.amdhsa_user_sgpr_kernarg_segment_ptr 1
		.amdhsa_user_sgpr_dispatch_id 0
		.amdhsa_user_sgpr_kernarg_preload_length 0
		.amdhsa_user_sgpr_kernarg_preload_offset 0
		.amdhsa_user_sgpr_private_segment_size 0
		.amdhsa_wavefront_size32 1
		.amdhsa_uses_dynamic_stack 0
		.amdhsa_enable_private_segment 0
		.amdhsa_system_sgpr_workgroup_id_x 1
		.amdhsa_system_sgpr_workgroup_id_y 1
		.amdhsa_system_sgpr_workgroup_id_z 1
		.amdhsa_system_sgpr_workgroup_info 0
		.amdhsa_system_vgpr_workitem_id 1
		.amdhsa_next_free_vgpr 79
		.amdhsa_next_free_sgpr 78
		.amdhsa_named_barrier_count 0
		.amdhsa_reserve_vcc 1
		.amdhsa_float_round_mode_32 0
		.amdhsa_float_round_mode_16_64 0
		.amdhsa_float_denorm_mode_32 3
		.amdhsa_float_denorm_mode_16_64 3
		.amdhsa_fp16_overflow 0
		.amdhsa_memory_ordered 1
		.amdhsa_forward_progress 1
		.amdhsa_inst_pref_size 25
		.amdhsa_round_robin_scheduling 0
		.amdhsa_exception_fp_ieee_invalid_op 0
		.amdhsa_exception_fp_denorm_src 0
		.amdhsa_exception_fp_ieee_div_zero 0
		.amdhsa_exception_fp_ieee_overflow 0
		.amdhsa_exception_fp_ieee_underflow 0
		.amdhsa_exception_fp_ieee_inexact 0
		.amdhsa_exception_int_div_zero 0
	.end_amdhsa_kernel
	.section	.text._Z15init_velocity_gIL12lattice_type19EEv8lbm_vars5BoxCUS2_dfffd,"axG",@progbits,_Z15init_velocity_gIL12lattice_type19EEv8lbm_vars5BoxCUS2_dfffd,comdat
.Lfunc_end2:
	.size	_Z15init_velocity_gIL12lattice_type19EEv8lbm_vars5BoxCUS2_dfffd, .Lfunc_end2-_Z15init_velocity_gIL12lattice_type19EEv8lbm_vars5BoxCUS2_dfffd
                                        ; -- End function
	.set _Z15init_velocity_gIL12lattice_type19EEv8lbm_vars5BoxCUS2_dfffd.num_vgpr, 79
	.set _Z15init_velocity_gIL12lattice_type19EEv8lbm_vars5BoxCUS2_dfffd.num_agpr, 0
	.set _Z15init_velocity_gIL12lattice_type19EEv8lbm_vars5BoxCUS2_dfffd.numbered_sgpr, 78
	.set _Z15init_velocity_gIL12lattice_type19EEv8lbm_vars5BoxCUS2_dfffd.num_named_barrier, 0
	.set _Z15init_velocity_gIL12lattice_type19EEv8lbm_vars5BoxCUS2_dfffd.private_seg_size, 0
	.set _Z15init_velocity_gIL12lattice_type19EEv8lbm_vars5BoxCUS2_dfffd.uses_vcc, 1
	.set _Z15init_velocity_gIL12lattice_type19EEv8lbm_vars5BoxCUS2_dfffd.uses_flat_scratch, 0
	.set _Z15init_velocity_gIL12lattice_type19EEv8lbm_vars5BoxCUS2_dfffd.has_dyn_sized_stack, 0
	.set _Z15init_velocity_gIL12lattice_type19EEv8lbm_vars5BoxCUS2_dfffd.has_recursion, 0
	.set _Z15init_velocity_gIL12lattice_type19EEv8lbm_vars5BoxCUS2_dfffd.has_indirect_call, 0
	.section	.AMDGPU.csdata,"",@progbits
; Kernel info:
; codeLenInByte = 3176
; TotalNumSgprs: 80
; NumVgprs: 79
; ScratchSize: 0
; MemoryBound: 0
; FloatMode: 240
; IeeeMode: 1
; LDSByteSize: 0 bytes/workgroup (compile time only)
; SGPRBlocks: 0
; VGPRBlocks: 4
; NumSGPRsForWavesPerEU: 80
; NumVGPRsForWavesPerEU: 79
; NamedBarCnt: 0
; Occupancy: 12
; WaveLimiterHint : 1
; COMPUTE_PGM_RSRC2:SCRATCH_EN: 0
; COMPUTE_PGM_RSRC2:USER_SGPR: 2
; COMPUTE_PGM_RSRC2:TRAP_HANDLER: 0
; COMPUTE_PGM_RSRC2:TGID_X_EN: 1
; COMPUTE_PGM_RSRC2:TGID_Y_EN: 1
; COMPUTE_PGM_RSRC2:TGID_Z_EN: 1
; COMPUTE_PGM_RSRC2:TIDIG_COMP_CNT: 1
	.section	.text._Z20collide_and_stream_gIL12lattice_type19EEv8lbm_vars5BoxCUddbi,"axG",@progbits,_Z20collide_and_stream_gIL12lattice_type19EEv8lbm_vars5BoxCUddbi,comdat
	.protected	_Z20collide_and_stream_gIL12lattice_type19EEv8lbm_vars5BoxCUddbi ; -- Begin function _Z20collide_and_stream_gIL12lattice_type19EEv8lbm_vars5BoxCUddbi
	.globl	_Z20collide_and_stream_gIL12lattice_type19EEv8lbm_vars5BoxCUddbi
	.p2align	8
	.type	_Z20collide_and_stream_gIL12lattice_type19EEv8lbm_vars5BoxCUddbi,@function
_Z20collide_and_stream_gIL12lattice_type19EEv8lbm_vars5BoxCUddbi: ; @_Z20collide_and_stream_gIL12lattice_type19EEv8lbm_vars5BoxCUddbi
; %bb.0:
	s_load_b32 s33, s[0:1], 0x8c
	s_bfe_u32 s2, ttmp6, 0x40014
	s_lshr_b32 s3, ttmp7, 16
	s_add_co_i32 s2, s2, 1
	s_bfe_u32 s5, ttmp6, 0x40008
	s_mul_i32 s4, s3, s2
	s_getreg_b32 s2, hwreg(HW_REG_IB_STS2, 6, 4)
	s_add_co_i32 s5, s5, s4
	s_cmp_eq_u32 s2, 0
	s_mov_b32 s21, 0
	s_cselect_b32 s74, s3, s5
	s_wait_kmcnt 0x0
	s_cmp_ge_i32 s74, s33
	s_cbranch_scc1 .LBB3_119
; %bb.1:
	s_clause 0x1
	s_load_b32 s3, s[0:1], 0xa0
	s_load_b128 s[12:15], s[0:1], 0x90
	s_add_nc_u64 s[26:27], s[0:1], 0x78
	s_clause 0x5
	s_load_b32 s75, s[26:27], 0x4
	s_load_b64 s[22:23], s[0:1], 0x28
	s_load_b32 s76, s[26:27], 0xc
	s_load_b128 s[16:19], s[0:1], 0x18
	s_load_b256 s[4:11], s[0:1], 0x50
	s_load_b64 s[24:25], s[0:1], 0x70
	s_wait_xcnt 0x0
	s_add_nc_u64 s[26:27], s[0:1], 0xa8
                                        ; implicit-def: $vgpr138 : SGPR spill to VGPR lane
	s_clause 0x1
	s_load_b64 s[28:29], s[0:1], 0xac
	s_load_u16 s20, s[0:1], 0xb6
	v_writelane_b32 v138, s26, 0
	v_bfe_u32 v2, v0, 10, 10
	v_and_b32_e32 v58, 0x3ff, v0
	s_mov_b32 s69, s21
	s_mov_b32 s71, s21
	v_writelane_b32 v138, s27, 1
	s_mov_b32 s73, s21
                                        ; implicit-def: $vgpr60
                                        ; implicit-def: $vgpr14_vgpr15
	v_mov_b32_e32 v13, 0
	s_wait_kmcnt 0x0
	s_mul_i32 s0, s33, s75
	s_bitcmp1_b32 s3, 0
	v_cvt_f32_f64_e32 v3, s[12:13]
	s_cselect_b32 s77, -1, 0
	s_bfe_u32 s3, ttmp6, 0x4000c
	s_bfe_u32 s12, ttmp6, 0x40010
	s_and_b32 s13, ttmp7, 0xffff
	s_add_co_i32 s3, s3, 1
	s_add_co_i32 s27, s12, 1
	s_and_b32 s1, ttmp6, 15
	s_bfe_u32 s26, ttmp6, 0x40004
	s_mul_i32 s12, s0, s76
	s_mul_i32 s0, ttmp9, s3
	s_mul_i32 s3, s13, s27
	s_add_co_i32 s1, s1, s0
	s_add_co_i32 s26, s26, s3
	s_cmp_eq_u32 s2, 0
	v_add_f64_e64 v[0:1], -s[14:15], 1.0
	s_cselect_b32 s0, s13, s26
	s_cselect_b32 s1, ttmp9, s1
	s_abs_i32 s86, s76
	v_writelane_b32 v138, s1, 2
	s_cvt_f32_u32 s1, s86
	s_abs_i32 s87, s33
	s_abs_i32 s88, s75
	v_mad_u32 v59, s0, s20, v2
	s_cvt_f32_u32 s0, s88
	s_sub_co_i32 s3, 0, s86
	s_mul_i32 s78, s33, s76
	v_writelane_b32 v138, s28, 3
	s_mul_i32 s30, s78, s75
	s_mul_i32 s79, s78, 9
	;; [unrolled: 1-line block ×4, first 2 shown]
	v_add_f32_e32 v6, 0, v3
	v_cvt_f64_f32_e64 v[4:5], -v3
	v_cvt_f64_f32_e32 v[8:9], v3
	v_rcp_iflag_f32_e32 v3, s1
	s_cvt_f32_u32 s1, s87
	v_cvt_f64_f32_e32 v[10:11], v6
	s_mul_i32 s82, s78, 15
	s_mul_i32 s31, s78, 17
	v_rcp_iflag_f32_e32 v2, s1
	s_mul_i32 s35, s78, 18
	v_readfirstlane_b32 s2, v3
	v_rcp_iflag_f32_e32 v3, s0
	s_lshl_b32 s89, s78, 3
	s_lshl_b32 s90, s78, 4
	s_mul_i32 s34, s30, 3
	v_readfirstlane_b32 s1, v2
	s_mul_f32 s0, s2, 0x4f7ffffe
	s_mul_i32 s36, s30, 5
	v_readfirstlane_b32 s13, v3
	s_mul_i32 s38, s30, 6
	s_cvt_u32_f32 s2, s0
	s_mul_f32 s1, s1, 0x4f7ffffe
	v_cmp_gt_i32_e64 s0, s76, v59
	s_mul_i32 s40, s30, 7
	s_mul_i32 s3, s3, s2
	s_cvt_u32_f32 s1, s1
	s_mul_hi_u32 s3, s2, s3
	s_mul_i32 s42, s30, 11
	s_add_co_i32 s68, s2, s3
	s_mul_f32 s2, s13, 0x4f7ffffe
	s_sub_co_i32 s3, 0, s87
	s_sub_co_i32 s13, 0, s88
	s_mul_i32 s3, s3, s1
	v_mul_f64_e32 v[2:3], 0x3fd5555555555555, v[4:5]
	v_mul_f64_e32 v[4:5], 0x3fc5555555555555, v[4:5]
	;; [unrolled: 1-line block ×5, first 2 shown]
	s_cvt_u32_f32 s2, s2
	s_mul_hi_u32 s3, s1, s3
	s_mul_i32 s44, s30, 12
	s_mul_i32 s46, s30, 10
	;; [unrolled: 1-line block ×9, first 2 shown]
	s_lshl_b32 s60, s30, 1
	s_lshl_b32 s62, s30, 2
	s_mul_i32 s64, s90, s75
	s_mul_i32 s66, s89, s75
	s_add_co_i32 s70, s1, s3
	s_mul_hi_u32 s1, s2, s13
	v_writelane_b32 v138, s29, 4
	s_mul_i32 s28, s28, s20
	s_add_co_i32 s72, s2, s1
	s_ashr_i32 s47, s46, 31
	s_ashr_i32 s43, s42, 31
	;; [unrolled: 1-line block ×19, first 2 shown]
	s_add_co_i32 s91, s12, s12
	s_branch .LBB3_4
.LBB3_2:                                ;   in Loop: Header=BB3_4 Depth=1
	s_or_b32 exec_lo, exec_lo, s98
.LBB3_3:                                ;   in Loop: Header=BB3_4 Depth=1
	s_delay_alu instid0(SALU_CYCLE_1) | instskip(SKIP_3) | instid1(SALU_CYCLE_1)
	s_or_b32 exec_lo, exec_lo, s92
	v_readlane_b32 s2, v138, 3
	v_readlane_b32 s3, v138, 4
	s_add_co_i32 s74, s3, s74
	s_cmp_ge_i32 s74, s33
	s_cbranch_scc1 .LBB3_119
.LBB3_4:                                ; =>This Loop Header: Depth=1
                                        ;     Child Loop BB3_8 Depth 2
                                        ;       Child Loop BB3_12 Depth 3
	s_and_saveexec_b32 s92, s0
	s_cbranch_execz .LBB3_3
; %bb.5:                                ;   in Loop: Header=BB3_4 Depth=1
	v_readlane_b32 s94, v138, 0
	v_readlane_b32 s95, v138, 1
	s_add_co_i32 s26, s74, s33
	v_mov_b32_e32 v62, v59
	s_abs_i32 s20, s26
	s_add_co_i32 s27, s26, 1
	s_load_b32 s1, s[94:95], 0xc
	s_mul_u64 s[2:3], s[20:21], s[70:71]
	s_add_co_i32 s29, s26, -1
	s_mul_i32 s2, s3, s87
	s_ashr_i32 s83, s26, 31
	s_sub_co_i32 s2, s20, s2
	s_mov_b32 s98, 0
	s_sub_co_i32 s3, s2, s87
	s_wait_kmcnt 0x0
	s_and_b32 s1, s1, 0xffff
	s_cmp_ge_u32 s2, s87
	s_cselect_b32 s2, s3, s2
	s_delay_alu instid0(SALU_CYCLE_1) | instskip(SKIP_3) | instid1(SALU_CYCLE_1)
	s_sub_co_i32 s3, s2, s87
	s_cmp_ge_u32 s2, s87
	s_cselect_b32 s84, s3, s2
	s_not_b32 s2, s26
	s_max_i32 s20, s27, s2
	s_ashr_i32 s27, s27, 31
	s_mul_u64 s[2:3], s[20:21], s[70:71]
	s_delay_alu instid0(SALU_CYCLE_1)
	s_mul_i32 s2, s3, s87
	s_xor_b32 s3, s84, s83
	s_sub_co_i32 s2, s20, s2
	s_sub_co_i32 s93, s3, s83
	;; [unrolled: 1-line block ×3, first 2 shown]
	s_cmp_ge_u32 s2, s87
	s_load_b32 s83, s[94:95], 0x0
	s_cselect_b32 s2, s3, s2
	s_mul_i32 s93, s93, s76
	s_sub_co_i32 s3, s2, s87
	s_cmp_ge_u32 s2, s87
	s_cselect_b32 s84, s3, s2
	s_sub_co_i32 s2, 1, s26
	s_xor_b32 s26, s84, s27
	s_max_i32 s20, s29, s2
	v_readlane_b32 s2, v138, 2
	s_wait_xcnt 0x0
	s_sub_co_i32 s94, s26, s27
	s_delay_alu instid0(SALU_CYCLE_1) | instskip(SKIP_4) | instid1(SALU_CYCLE_1)
	s_mul_i32 s94, s94, s76
	v_mad_u32 v61, s2, s1, v58
	s_mul_u64 s[2:3], s[20:21], s[70:71]
	s_ashr_i32 s2, s29, 31
	s_mul_i32 s3, s3, s87
	s_sub_co_i32 s3, s20, s3
	s_delay_alu instid0(SALU_CYCLE_1)
	s_sub_co_i32 s20, s3, s87
	s_cmp_ge_u32 s3, s87
	s_cselect_b32 s3, s20, s3
	s_wait_kmcnt 0x0
	s_mul_i32 s20, s83, s1
	s_sub_co_i32 s26, s3, s87
	s_cmp_ge_u32 s3, s87
	v_cmp_gt_i32_e64 s1, s75, v61
	s_cselect_b32 s3, s26, s3
	s_delay_alu instid0(SALU_CYCLE_1) | instskip(NEXT) | instid1(SALU_CYCLE_1)
	s_xor_b32 s3, s3, s2
	s_sub_co_i32 s95, s3, s2
	s_mul_i32 s2, s78, 18
	s_mul_i32 s95, s95, s76
	s_add_co_i32 s96, s94, s2
	s_mul_i32 s2, s78, 17
	s_add_co_i32 s97, s78, s95
	s_add_co_i32 s99, s2, s95
	s_branch .LBB3_8
.LBB3_6:                                ;   in Loop: Header=BB3_8 Depth=2
	s_or_b32 exec_lo, exec_lo, s101
.LBB3_7:                                ;   in Loop: Header=BB3_8 Depth=2
	s_delay_alu instid0(SALU_CYCLE_1) | instskip(SKIP_1) | instid1(VALU_DEP_1)
	s_or_b32 exec_lo, exec_lo, s100
	v_add_nc_u32_e32 v62, s28, v62
	v_cmp_le_i32_e32 vcc_lo, s76, v62
	s_or_b32 s98, vcc_lo, s98
	s_delay_alu instid0(SALU_CYCLE_1)
	s_and_not1_b32 exec_lo, exec_lo, s98
	s_cbranch_execz .LBB3_2
.LBB3_8:                                ;   Parent Loop BB3_4 Depth=1
                                        ; =>  This Loop Header: Depth=2
                                        ;       Child Loop BB3_12 Depth 3
	s_and_saveexec_b32 s100, s1
	s_cbranch_execz .LBB3_7
; %bb.9:                                ;   in Loop: Header=BB3_8 Depth=2
	v_dual_add_nc_u32 v18, s76, v62 :: v_dual_mov_b32 v82, v61
	s_mov_b32 s101, 0
	s_delay_alu instid0(VALU_DEP_1) | instskip(NEXT) | instid1(VALU_DEP_1)
	v_sub_nc_u32_e32 v12, 0, v18
	v_max_i32_e32 v12, v18, v12
	s_delay_alu instid0(VALU_DEP_1) | instskip(NEXT) | instid1(VALU_DEP_1)
	v_mul_u64_e32 v[16:17], s[68:69], v[12:13]
	v_mul_lo_u32 v16, v17, s86
	s_delay_alu instid0(VALU_DEP_1) | instskip(SKIP_2) | instid1(VALU_DEP_3)
	v_dual_sub_nc_u32 v20, v12, v16 :: v_dual_add_nc_u32 v19, 1, v18
	v_not_b32_e32 v17, v18
	v_add_nc_u32_e32 v21, -1, v18
	v_cmp_le_u32_e32 vcc_lo, s86, v20
	s_delay_alu instid0(VALU_DEP_3) | instskip(NEXT) | instid1(VALU_DEP_1)
	v_max_i32_e32 v12, v19, v17
	v_mul_u64_e32 v[16:17], s[68:69], v[12:13]
	s_delay_alu instid0(VALU_DEP_1) | instskip(SKIP_1) | instid1(VALU_DEP_1)
	v_mul_lo_u32 v16, v17, s86
	v_dual_sub_nc_u32 v17, 1, v18 :: v_dual_ashrrev_i32 v18, 31, v18
	v_dual_sub_nc_u32 v22, v12, v16 :: v_dual_max_i32 v12, v21, v17
	s_delay_alu instid0(VALU_DEP_1) | instskip(SKIP_1) | instid1(VALU_DEP_1)
	v_mul_u64_e32 v[16:17], s[68:69], v[12:13]
	v_subrev_nc_u32_e32 v16, s86, v20
	v_cndmask_b32_e32 v16, v20, v16, vcc_lo
	s_delay_alu instid0(VALU_DEP_1) | instskip(SKIP_1) | instid1(VALU_DEP_2)
	v_subrev_nc_u32_e32 v20, s86, v16
	v_cmp_le_u32_e32 vcc_lo, s86, v16
	v_cndmask_b32_e32 v16, v16, v20, vcc_lo
	v_cmp_le_u32_e32 vcc_lo, s86, v22
	s_delay_alu instid0(VALU_DEP_2) | instskip(NEXT) | instid1(VALU_DEP_1)
	v_xor_b32_e32 v16, v16, v18
	v_dual_sub_nc_u32 v16, v16, v18 :: v_dual_ashrrev_i32 v18, 31, v19
	v_ashrrev_i32_e32 v19, 31, v21
	v_subrev_nc_u32_e32 v21, s86, v22
	v_mul_lo_u32 v17, v17, s86
	s_delay_alu instid0(VALU_DEP_1) | instskip(NEXT) | instid1(VALU_DEP_3)
	v_sub_nc_u32_e32 v12, v12, v17
	v_dual_cndmask_b32 v17, v22, v21 :: v_dual_add_nc_u32 v20, s93, v16
	v_dual_add_nc_u32 v23, s94, v16 :: v_dual_add_nc_u32 v16, s95, v16
	s_delay_alu instid0(VALU_DEP_3) | instskip(SKIP_1) | instid1(VALU_DEP_4)
	v_subrev_nc_u32_e32 v21, s86, v12
	v_cmp_le_u32_e32 vcc_lo, s86, v12
	v_mul_lo_u32 v63, v20, s75
	v_add_nc_u32_e32 v20, s78, v20
	v_subrev_nc_u32_e32 v24, s86, v17
	v_mul_lo_u32 v22, v23, s75
	v_cndmask_b32_e32 v12, v12, v21, vcc_lo
	v_cmp_le_u32_e32 vcc_lo, s86, v17
	v_mul_lo_u32 v21, v16, s75
	v_add_nc_u32_e32 v23, s90, v23
	v_mul_lo_u32 v64, v20, s75
	v_cndmask_b32_e32 v17, v17, v24, vcc_lo
	v_subrev_nc_u32_e32 v24, s86, v12
	v_cmp_le_u32_e32 vcc_lo, s86, v12
	v_dual_add_nc_u32 v16, s82, v16 :: v_dual_add_nc_u32 v69, s38, v22
	s_delay_alu instid0(VALU_DEP_4) | instskip(SKIP_2) | instid1(VALU_DEP_4)
	v_xor_b32_e32 v17, v17, v18
	v_mul_lo_u32 v66, v23, s75
	v_cndmask_b32_e32 v12, v12, v24, vcc_lo
	v_mul_lo_u32 v65, v16, s75
	s_delay_alu instid0(VALU_DEP_4) | instskip(NEXT) | instid1(VALU_DEP_3)
	v_dual_add_nc_u32 v70, s40, v21 :: v_dual_sub_nc_u32 v16, v17, v18
	v_dual_add_nc_u32 v20, s79, v20 :: v_dual_bitop2_b32 v12, v12, v19 bitop3:0x14
	v_dual_add_nc_u32 v68, s34, v22 :: v_dual_add_nc_u32 v77, s44, v21
	s_delay_alu instid0(VALU_DEP_3) | instskip(NEXT) | instid1(VALU_DEP_3)
	v_dual_add_nc_u32 v17, s89, v16 :: v_dual_add_nc_u32 v16, s93, v16
	v_sub_nc_u32_e32 v12, v12, v19
	s_delay_alu instid0(VALU_DEP_4) | instskip(NEXT) | instid1(VALU_DEP_3)
	v_mul_lo_u32 v67, v20, s75
	v_add_nc_u32_e32 v18, s94, v17
	s_delay_alu instid0(VALU_DEP_4) | instskip(NEXT) | instid1(VALU_DEP_4)
	v_mul_lo_u32 v19, v16, s75
	v_dual_add_nc_u32 v20, s93, v12 :: v_dual_add_nc_u32 v17, s97, v17
	v_add_nc_u32_e32 v16, s81, v16
	s_delay_alu instid0(VALU_DEP_4) | instskip(SKIP_1) | instid1(VALU_DEP_4)
	v_mul_lo_u32 v71, v18, s75
	v_dual_add_nc_u32 v18, s99, v12 :: v_dual_add_nc_u32 v12, s96, v12
	v_mul_lo_u32 v22, v20, s75
	v_add_nc_u32_e32 v20, s80, v20
	v_mul_lo_u32 v72, v17, s75
	v_mul_lo_u32 v73, v16, s75
	;; [unrolled: 1-line block ×5, first 2 shown]
	v_dual_add_nc_u32 v78, s60, v19 :: v_dual_add_nc_u32 v79, s62, v19
	v_dual_add_nc_u32 v80, s36, v22 :: v_dual_add_nc_u32 v81, s42, v22
	s_branch .LBB3_12
.LBB3_10:                               ;   in Loop: Header=BB3_12 Depth=3
	s_wait_xcnt 0x0
	s_or_b32 exec_lo, exec_lo, s2
	v_add_nc_u32_e32 v12, s91, v16
	v_lshl_add_u64 v[16:17], v[16:17], 3, s[6:7]
	s_delay_alu instid0(VALU_DEP_2) | instskip(NEXT) | instid1(VALU_DEP_2)
	v_add_nc_u32_e32 v83, s12, v12
	v_lshl_add_u64 v[56:57], s[12:13], 3, v[16:17]
	s_clause 0x1
	global_store_b64 v[16:17], v[52:53], off
	global_store_b64 v[56:57], v[34:35], off
	v_add_nc_u32_e32 v84, s12, v83
	s_delay_alu instid0(VALU_DEP_1) | instskip(NEXT) | instid1(VALU_DEP_1)
	v_add_nc_u32_e32 v85, s12, v84
	v_add_nc_u32_e32 v86, s12, v85
	s_delay_alu instid0(VALU_DEP_1)
	v_add_nc_u32_e32 v87, s12, v86
	s_clause 0x3
	global_store_b64 v12, v[26:27], s[6:7] scale_offset
	global_store_b64 v83, v[28:29], s[6:7] scale_offset
	;; [unrolled: 1-line block ×4, first 2 shown]
	v_add_nc_u32_e32 v88, s12, v87
	s_delay_alu instid0(VALU_DEP_1) | instskip(NEXT) | instid1(VALU_DEP_1)
	v_add_nc_u32_e32 v89, s12, v88
	v_add_nc_u32_e32 v90, s12, v89
	s_delay_alu instid0(VALU_DEP_1)
	v_add_nc_u32_e32 v91, s12, v90
	s_clause 0x3
	global_store_b64 v86, v[20:21], s[6:7] scale_offset
	global_store_b64 v87, v[24:25], s[6:7] scale_offset
	;; [unrolled: 1-line block ×4, first 2 shown]
	v_add_nc_u32_e32 v92, s12, v91
	s_delay_alu instid0(VALU_DEP_1) | instskip(NEXT) | instid1(VALU_DEP_1)
	v_add_nc_u32_e32 v93, s12, v92
	v_add_nc_u32_e32 v94, s12, v93
	s_wait_xcnt 0x9
	s_delay_alu instid0(VALU_DEP_1)
	v_add_nc_u32_e32 v16, s12, v94
	s_clause 0x3
	global_store_b64 v90, v[46:47], s[6:7] scale_offset
	global_store_b64 v91, v[44:45], s[6:7] scale_offset
	;; [unrolled: 1-line block ×4, first 2 shown]
	s_wait_xcnt 0xb
	v_add_nc_u32_e32 v12, s12, v16
	s_delay_alu instid0(VALU_DEP_1) | instskip(SKIP_1) | instid1(VALU_DEP_1)
	v_add_nc_u32_e32 v17, s12, v12
	s_wait_xcnt 0x7
	v_add_nc_u32_e32 v20, s12, v17
	s_clause 0x4
	global_store_b64 v94, v[38:39], s[6:7] scale_offset
	global_store_b64 v16, v[50:51], s[6:7] scale_offset
	;; [unrolled: 1-line block ×5, first 2 shown]
.LBB3_11:                               ;   in Loop: Header=BB3_12 Depth=3
	s_wait_xcnt 0x0
	s_or_b32 exec_lo, exec_lo, s102
	v_add_nc_u32_e32 v82, s20, v82
	s_delay_alu instid0(VALU_DEP_1) | instskip(SKIP_1) | instid1(SALU_CYCLE_1)
	v_cmp_le_i32_e32 vcc_lo, s75, v82
	s_or_b32 s101, vcc_lo, s101
	s_and_not1_b32 exec_lo, exec_lo, s101
	s_cbranch_execz .LBB3_6
.LBB3_12:                               ;   Parent Loop BB3_4 Depth=1
                                        ;     Parent Loop BB3_8 Depth=2
                                        ; =>    This Inner Loop Header: Depth=3
	v_add_nc_u32_e32 v17, s75, v82
	s_mov_b32 s2, 0
	s_mov_b32 s3, exec_lo
	s_delay_alu instid0(VALU_DEP_1) | instskip(NEXT) | instid1(VALU_DEP_1)
	v_sub_nc_u32_e32 v12, 0, v17
	v_max_i32_e32 v12, v17, v12
	s_delay_alu instid0(VALU_DEP_1) | instskip(NEXT) | instid1(VALU_DEP_1)
	v_mul_u64_e32 v[18:19], s[72:73], v[12:13]
	v_mul_lo_u32 v16, v19, s88
	s_delay_alu instid0(VALU_DEP_1) | instskip(NEXT) | instid1(VALU_DEP_1)
	v_dual_sub_nc_u32 v12, v12, v16 :: v_dual_ashrrev_i32 v18, 31, v17
	v_subrev_nc_u32_e32 v16, s88, v12
	v_cmp_le_u32_e32 vcc_lo, s88, v12
	s_delay_alu instid0(VALU_DEP_2) | instskip(NEXT) | instid1(VALU_DEP_1)
	v_cndmask_b32_e32 v12, v12, v16, vcc_lo
	v_subrev_nc_u32_e32 v16, s88, v12
	v_cmp_le_u32_e32 vcc_lo, s88, v12
	s_delay_alu instid0(VALU_DEP_2) | instskip(NEXT) | instid1(VALU_DEP_1)
	v_cndmask_b32_e32 v12, v12, v16, vcc_lo
	v_xor_b32_e32 v12, v12, v18
	s_delay_alu instid0(VALU_DEP_1) | instskip(NEXT) | instid1(VALU_DEP_1)
	v_sub_nc_u32_e32 v18, v12, v18
	v_add_nc_u32_e32 v16, v63, v18
	global_load_u8 v84, v16, s[8:9]
	s_wait_loadcnt 0x0
	s_wait_xcnt 0x0
	v_cmpx_lt_i16_e32 9, v84
	s_xor_b32 s3, exec_lo, s3
	s_cbranch_execnz .LBB3_15
; %bb.13:                               ;   in Loop: Header=BB3_12 Depth=3
	s_and_not1_saveexec_b32 s3, s3
	s_cbranch_execnz .LBB3_16
.LBB3_14:                               ;   in Loop: Header=BB3_12 Depth=3
	s_or_b32 exec_lo, exec_lo, s3
	s_and_saveexec_b32 s102, s2
	s_cbranch_execz .LBB3_11
	s_branch .LBB3_17
.LBB3_15:                               ;   in Loop: Header=BB3_12 Depth=3
	v_cmp_ne_u16_e32 vcc_lo, 10, v84
	s_and_b32 s2, vcc_lo, exec_lo
	s_and_not1_saveexec_b32 s3, s3
	s_cbranch_execz .LBB3_14
.LBB3_16:                               ;   in Loop: Header=BB3_12 Depth=3
	v_cmp_ne_u16_e32 vcc_lo, 4, v84
	s_and_not1_b32 s2, s2, exec_lo
	s_and_b32 s26, vcc_lo, exec_lo
	s_delay_alu instid0(SALU_CYCLE_1)
	s_or_b32 s2, s2, s26
	s_or_b32 exec_lo, exec_lo, s3
	s_and_saveexec_b32 s102, s2
	s_cbranch_execz .LBB3_11
.LBB3_17:                               ;   in Loop: Header=BB3_12 Depth=3
	v_dual_add_nc_u32 v19, 1, v17 :: v_dual_add_nc_u32 v22, -1, v17
	v_not_b32_e32 v12, v17
	v_dual_add_nc_u32 v38, v18, v81 :: v_dual_add_nc_u32 v24, v18, v68
	v_dual_add_nc_u32 v36, v71, v18 :: v_dual_sub_nc_u32 v17, 1, v17
	s_delay_alu instid0(VALU_DEP_3) | instskip(SKIP_2) | instid1(VALU_DEP_2)
	v_dual_ashrrev_i32 v19, 31, v19 :: v_dual_max_i32 v12, v19, v12
	s_mov_b32 s2, exec_lo
	v_add_nc_u32_e32 v37, v72, v18
	v_mul_u64_e32 v[20:21], s[72:73], v[12:13]
	s_delay_alu instid0(VALU_DEP_1) | instskip(NEXT) | instid1(VALU_DEP_1)
	v_mul_lo_u32 v20, v21, s88
	v_dual_sub_nc_u32 v23, v12, v20 :: v_dual_max_i32 v12, v22, v17
	v_ashrrev_i32_e32 v17, 31, v16
	s_delay_alu instid0(VALU_DEP_2) | instskip(NEXT) | instid1(VALU_DEP_3)
	v_cmp_le_u32_e32 vcc_lo, s88, v23
	v_mul_u64_e32 v[20:21], s[72:73], v[12:13]
	v_subrev_nc_u32_e32 v20, s88, v23
	s_delay_alu instid0(VALU_DEP_1) | instskip(SKIP_1) | instid1(VALU_DEP_2)
	v_dual_cndmask_b32 v20, v23, v20 :: v_dual_add_nc_u32 v23, v18, v78
	v_lshl_add_u64 v[56:57], v[16:17], 3, s[4:5]
	v_subrev_nc_u32_e32 v25, s88, v20
	v_cmp_le_u32_e32 vcc_lo, s88, v20
	s_delay_alu instid0(VALU_DEP_2) | instskip(SKIP_2) | instid1(VALU_DEP_3)
	v_cndmask_b32_e32 v20, v20, v25, vcc_lo
	v_add_nc_u32_e32 v39, v18, v77
	v_dual_add_nc_u32 v25, v74, v18 :: v_dual_add_nc_u32 v18, v75, v18
	v_xor_b32_e32 v27, v20, v19
	v_mul_lo_u32 v21, v21, s88
	s_delay_alu instid0(VALU_DEP_1) | instskip(SKIP_1) | instid1(VALU_DEP_2)
	v_sub_nc_u32_e32 v12, v12, v21
	v_add_nc_u64_e32 v[20:21], s[24:25], v[16:17]
	v_subrev_nc_u32_e32 v26, s88, v12
	v_cmp_le_u32_e32 vcc_lo, s88, v12
	s_delay_alu instid0(VALU_DEP_2)
	v_dual_cndmask_b32 v12, v12, v26, vcc_lo :: v_dual_sub_nc_u32 v26, v27, v19
	s_clause 0x1
	global_load_b64 v[48:49], v25, s[4:5] scale_offset
	global_load_b64 v[18:19], v18, s[4:5] scale_offset
	v_ashrrev_i32_e32 v22, 31, v22
	global_load_u8 v83, v[20:21], off
	s_wait_xcnt 0x2
	v_subrev_nc_u32_e32 v25, s88, v12
	v_cmp_le_u32_e32 vcc_lo, s88, v12
	s_wait_xcnt 0x0
	v_dual_add_nc_u32 v20, v26, v64 :: v_dual_add_nc_u32 v21, v26, v79
	v_add_nc_u32_e32 v40, v26, v69
	v_dual_cndmask_b32 v12, v12, v25 :: v_dual_add_nc_u32 v25, v26, v80
	s_delay_alu instid0(VALU_DEP_1) | instskip(NEXT) | instid1(VALU_DEP_1)
	v_xor_b32_e32 v12, v12, v22
	v_sub_nc_u32_e32 v12, v12, v22
	v_add_nc_u32_e32 v41, v26, v70
	s_clause 0x7
	global_load_b64 v[34:35], v20, s[4:5] scale_offset
	global_load_b64 v[26:27], v23, s[4:5] scale_offset
	;; [unrolled: 1-line block ×8, first 2 shown]
	s_wait_xcnt 0x0
	v_dual_add_nc_u32 v36, v12, v67 :: v_dual_add_nc_u32 v42, v12, v76
	v_add_nc_u32_e32 v50, v12, v73
	v_dual_add_nc_u32 v51, v12, v65 :: v_dual_add_nc_u32 v12, v12, v66
	s_clause 0x8
	global_load_b64 v[40:41], v37, s[4:5] scale_offset
	global_load_b64 v[46:47], v36, s[4:5] scale_offset
	;; [unrolled: 1-line block ×8, first 2 shown]
	global_load_b64 v[52:53], v[56:57], off
	s_wait_xcnt 0x1
	v_bfe_i32 v12, v84, 0, 8
	s_delay_alu instid0(VALU_DEP_1) | instskip(SKIP_1) | instid1(VALU_DEP_1)
	v_and_b32_e32 v84, -2, v12
	s_wait_xcnt 0x0
	v_cmpx_eq_u16_e32 2, v84
	s_cbranch_execz .LBB3_55
; %bb.18:                               ;   in Loop: Header=BB3_12 Depth=3
	v_lshl_add_u64 v[84:85], v[16:17], 2, s[10:11]
	s_mov_b32 s3, exec_lo
	global_load_b32 v84, v[84:85], off
	s_wait_loadcnt 0x0
	s_wait_xcnt 0x0
	v_and_b32_e32 v85, 2, v84
	s_delay_alu instid0(VALU_DEP_1)
	v_cmpx_ne_u32_e32 0, v85
	s_cbranch_execz .LBB3_20
; %bb.19:                               ;   in Loop: Header=BB3_12 Depth=3
	v_lshl_add_u64 v[34:35], s[46:47], 3, v[56:57]
	global_load_b64 v[34:35], v[34:35], off
.LBB3_20:                               ;   in Loop: Header=BB3_12 Depth=3
	s_wait_xcnt 0x0
	s_or_b32 exec_lo, exec_lo, s3
	v_and_b32_e32 v85, 4, v84
	s_mov_b32 s3, exec_lo
	s_delay_alu instid0(VALU_DEP_1)
	v_cmpx_ne_u32_e32 0, v85
	s_cbranch_execz .LBB3_22
; %bb.21:                               ;   in Loop: Header=BB3_12 Depth=3
	v_lshl_add_u64 v[26:27], s[42:43], 3, v[56:57]
	global_load_b64 v[26:27], v[26:27], off
.LBB3_22:                               ;   in Loop: Header=BB3_12 Depth=3
	s_wait_xcnt 0x0
	s_or_b32 exec_lo, exec_lo, s3
	v_and_b32_e32 v85, 8, v84
	s_mov_b32 s3, exec_lo
	;; [unrolled: 11-line block ×17, first 2 shown]
	s_delay_alu instid0(VALU_DEP_1)
	v_cmpx_ne_u32_e32 0, v84
	s_cbranch_execz .LBB3_54
; %bb.53:                               ;   in Loop: Header=BB3_12 Depth=3
	v_lshl_add_u64 v[18:19], s[58:59], 3, v[56:57]
	global_load_b64 v[18:19], v[18:19], off
.LBB3_54:                               ;   in Loop: Header=BB3_12 Depth=3
	s_wait_xcnt 0x0
	s_or_b32 exec_lo, exec_lo, s3
.LBB3_55:                               ;   in Loop: Header=BB3_12 Depth=3
	s_delay_alu instid0(SALU_CYCLE_1) | instskip(NEXT) | instid1(SALU_CYCLE_1)
	s_or_b32 exec_lo, exec_lo, s2
	s_mov_b32 s103, exec_lo
	v_cmpx_eq_u16_e32 2, v12
	s_cbranch_execz .LBB3_76
; %bb.56:                               ;   in Loop: Header=BB3_12 Depth=3
	s_wait_loadcnt 0x11
	v_and_b32_e32 v84, 0xff, v83
	s_mov_b32 s2, 0
	s_mov_b32 s3, exec_lo
	s_delay_alu instid0(VALU_DEP_1)
	v_cmpx_lt_i16_e32 2, v84
	s_xor_b32 s3, exec_lo, s3
	s_cbranch_execnz .LBB3_80
; %bb.57:                               ;   in Loop: Header=BB3_12 Depth=3
	s_and_not1_saveexec_b32 s3, s3
	s_cbranch_execnz .LBB3_81
.LBB3_58:                               ;   in Loop: Header=BB3_12 Depth=3
	s_or_b32 exec_lo, exec_lo, s3
	s_and_saveexec_b32 s3, s2
	s_cbranch_execz .LBB3_60
.LBB3_59:                               ;   in Loop: Header=BB3_12 Depth=3
	s_wait_loadcnt 0x0
	v_add_f64_e32 v[30:31], v[4:5], v[30:31]
.LBB3_60:                               ;   in Loop: Header=BB3_12 Depth=3
	s_or_b32 exec_lo, exec_lo, s3
	s_mov_b32 s26, 0
	s_mov_b32 s2, 0
	s_mov_b32 s3, exec_lo
	v_cmpx_lt_i16_e32 3, v84
	s_xor_b32 s3, exec_lo, s3
	s_cbranch_execnz .LBB3_84
; %bb.61:                               ;   in Loop: Header=BB3_12 Depth=3
	s_and_not1_saveexec_b32 s3, s3
	s_cbranch_execnz .LBB3_87
.LBB3_62:                               ;   in Loop: Header=BB3_12 Depth=3
	s_or_b32 exec_lo, exec_lo, s3
	s_and_saveexec_b32 s3, s26
	s_cbranch_execnz .LBB3_88
.LBB3_63:                               ;   in Loop: Header=BB3_12 Depth=3
	s_or_b32 exec_lo, exec_lo, s3
	s_and_saveexec_b32 s3, s2
	s_cbranch_execz .LBB3_65
.LBB3_64:                               ;   in Loop: Header=BB3_12 Depth=3
	s_wait_loadcnt 0x0
	v_add_f64_e32 v[24:25], v[4:5], v[24:25]
.LBB3_65:                               ;   in Loop: Header=BB3_12 Depth=3
	s_or_b32 exec_lo, exec_lo, s3
	v_add_nc_u16 v56, v83, -3
	v_add_nc_u16 v57, v83, -1
	s_mov_b32 s83, 0
	s_mov_b32 s84, 0
	s_mov_b32 vcc_hi, 0
	v_and_b32_e32 v56, 0xff, v56
	v_and_b32_e32 v57, 0xff, v57
	s_mov_b32 s104, 0
	s_mov_b32 s26, exec_lo
	s_delay_alu instid0(VALU_DEP_2) | instskip(NEXT) | instid1(VALU_DEP_2)
	v_cmp_gt_u16_e64 s2, 2, v56
	v_cmp_gt_u16_e32 vcc_lo, 2, v57
                                        ; implicit-def: $vgpr56_vgpr57
	v_cmpx_lt_i16_e32 2, v84
	s_xor_b32 s85, exec_lo, s26
	s_cbranch_execnz .LBB3_93
; %bb.66:                               ;   in Loop: Header=BB3_12 Depth=3
	s_and_not1_saveexec_b32 s85, s85
	s_cbranch_execnz .LBB3_100
.LBB3_67:                               ;   in Loop: Header=BB3_12 Depth=3
	s_or_b32 exec_lo, exec_lo, s85
	s_and_saveexec_b32 s26, s84
	s_cbranch_execz .LBB3_69
.LBB3_68:                               ;   in Loop: Header=BB3_12 Depth=3
	s_wait_loadcnt 0x0
	v_add_f64_e32 v[38:39], v[8:9], v[38:39]
	v_and_b32_e32 v56, 0xff, v83
	s_and_not1_b32 s27, vcc_hi, exec_lo
	s_delay_alu instid0(VALU_DEP_1) | instskip(SKIP_2) | instid1(SALU_CYCLE_1)
	v_cmp_eq_u16_e64 s3, 0, v56
	v_mov_b64_e32 v[56:57], v[54:55]
	s_and_b32 s3, s3, exec_lo
	s_or_b32 vcc_hi, s27, s3
.LBB3_69:                               ;   in Loop: Header=BB3_12 Depth=3
	s_or_b32 exec_lo, exec_lo, s26
	s_mov_b32 s84, 0
	s_mov_b32 s85, 0
	s_and_saveexec_b32 s26, vcc_hi
	s_cbranch_execnz .LBB3_113
; %bb.70:                               ;   in Loop: Header=BB3_12 Depth=3
	s_or_b32 exec_lo, exec_lo, s26
	s_wait_loadcnt 0x0
	v_mov_b64_e32 v[54:55], v[48:49]
	s_and_saveexec_b32 s26, s83
	s_cbranch_execnz .LBB3_116
.LBB3_71:                               ;   in Loop: Header=BB3_12 Depth=3
	s_or_b32 exec_lo, exec_lo, s26
	s_and_saveexec_b32 s26, s85
	s_cbranch_execnz .LBB3_117
.LBB3_72:                               ;   in Loop: Header=BB3_12 Depth=3
	s_or_b32 exec_lo, exec_lo, s26
	s_and_saveexec_b32 s26, s104
	s_cbranch_execnz .LBB3_118
.LBB3_73:                               ;   in Loop: Header=BB3_12 Depth=3
	s_or_b32 exec_lo, exec_lo, s26
	s_and_saveexec_b32 s3, s84
.LBB3_74:                               ;   in Loop: Header=BB3_12 Depth=3
	v_add_f64_e32 v[18:19], 0, v[18:19]
.LBB3_75:                               ;   in Loop: Header=BB3_12 Depth=3
	s_or_b32 exec_lo, exec_lo, s3
	v_add_f64_e32 v[86:87], v[4:5], v[32:33]
	v_add_f64_e32 v[84:85], 0, v[40:41]
	s_delay_alu instid0(VALU_DEP_4) | instskip(SKIP_1) | instid1(VALU_DEP_4)
	v_mov_b64_e32 v[48:49], v[54:55]
	v_mov_b64_e32 v[54:55], v[56:57]
	v_cndmask_b32_e32 v33, v33, v87, vcc_lo
	s_delay_alu instid0(VALU_DEP_4)
	v_dual_cndmask_b32 v41, v41, v85, s2 :: v_dual_cndmask_b32 v40, v40, v84, s2
	v_cndmask_b32_e32 v32, v32, v86, vcc_lo
.LBB3_76:                               ;   in Loop: Header=BB3_12 Depth=3
	s_or_b32 exec_lo, exec_lo, s103
	s_wait_loadcnt 0x0
	v_add_f64_e32 v[56:57], v[52:53], v[26:27]
	v_add_f64_e32 v[84:85], v[34:35], v[30:31]
	;; [unrolled: 1-line block ×6, first 2 shown]
	v_cmp_gt_i16_e64 s2, 4, v12
	v_add_f64_e32 v[56:57], v[56:57], v[28:29]
	v_add_f64_e32 v[84:85], v[84:85], v[32:33]
	;; [unrolled: 1-line block ×17, first 2 shown]
	s_delay_alu instid0(VALU_DEP_4) | instskip(SKIP_1) | instid1(VALU_DEP_3)
	v_add_f64_e32 v[88:89], v[84:85], v[86:87]
	v_add_f64_e64 v[84:85], v[86:87], -v[84:85]
	v_add_f64_e32 v[56:57], v[56:57], v[54:55]
	s_delay_alu instid0(VALU_DEP_1) | instskip(NEXT) | instid1(VALU_DEP_1)
	v_add_f64_e32 v[56:57], v[56:57], v[48:49]
	v_add_f64_e32 v[56:57], v[56:57], v[18:19]
	s_delay_alu instid0(VALU_DEP_1) | instskip(NEXT) | instid1(VALU_DEP_1)
	v_add_f64_e32 v[56:57], v[88:89], v[56:57]
	v_div_scale_f64 v[88:89], null, v[56:57], v[56:57], 1.0
	v_div_scale_f64 v[98:99], vcc_lo, 1.0, v[56:57], 1.0
	s_delay_alu instid0(VALU_DEP_2) | instskip(SKIP_1) | instid1(TRANS32_DEP_1)
	v_rcp_f64_e32 v[90:91], v[88:89]
	v_nop
	v_fma_f64 v[92:93], -v[88:89], v[90:91], 1.0
	s_delay_alu instid0(VALU_DEP_1) | instskip(NEXT) | instid1(VALU_DEP_1)
	v_fmac_f64_e32 v[90:91], v[90:91], v[92:93]
	v_fma_f64 v[92:93], -v[88:89], v[90:91], 1.0
	s_delay_alu instid0(VALU_DEP_1) | instskip(SKIP_1) | instid1(VALU_DEP_2)
	v_fmac_f64_e32 v[90:91], v[90:91], v[92:93]
	v_add_f64_e32 v[92:93], v[20:21], v[28:29]
	v_mul_f64_e32 v[102:103], v[98:99], v[90:91]
	s_delay_alu instid0(VALU_DEP_2) | instskip(NEXT) | instid1(VALU_DEP_2)
	v_add_f64_e32 v[92:93], v[92:93], v[22:23]
	v_fma_f64 v[88:89], -v[88:89], v[102:103], v[98:99]
	s_delay_alu instid0(VALU_DEP_2) | instskip(SKIP_1) | instid1(VALU_DEP_3)
	v_add_f64_e32 v[92:93], v[36:37], v[92:93]
	v_add_f64_e32 v[98:99], v[50:51], v[100:101]
	v_div_fmas_f64 v[88:89], v[88:89], v[90:91], v[102:103]
	s_delay_alu instid0(VALU_DEP_3) | instskip(NEXT) | instid1(VALU_DEP_3)
	v_add_f64_e32 v[90:91], v[92:93], v[18:19]
	v_add_f64_e32 v[92:93], v[48:49], v[98:99]
	s_delay_alu instid0(VALU_DEP_3) | instskip(SKIP_1) | instid1(VALU_DEP_3)
	v_div_fixup_f64 v[86:87], v[88:89], v[56:57], 1.0
	v_add_f64_e64 v[88:89], v[96:97], -v[94:95]
	v_add_f64_e64 v[90:91], v[92:93], -v[90:91]
	s_delay_alu instid0(VALU_DEP_3) | instskip(NEXT) | instid1(VALU_DEP_3)
	v_mul_f64_e32 v[84:85], v[84:85], v[86:87]
	v_mul_f64_e32 v[88:89], v[88:89], v[86:87]
	s_delay_alu instid0(VALU_DEP_3) | instskip(NEXT) | instid1(VALU_DEP_3)
	v_mul_f64_e32 v[86:87], v[90:91], v[86:87]
	v_cvt_f32_f64_e32 v83, v[84:85]
	s_delay_alu instid0(VALU_DEP_3) | instskip(NEXT) | instid1(VALU_DEP_3)
	v_cvt_f32_f64_e32 v84, v[88:89]
	v_cvt_f32_f64_e32 v85, v[86:87]
	s_and_saveexec_b32 s3, s2
	s_cbranch_execz .LBB3_78
; %bb.77:                               ;   in Loop: Header=BB3_12 Depth=3
	v_div_scale_f64 v[86:87], null, 0x40420000, 0x40420000, v[56:57]
	v_div_scale_f64 v[92:93], vcc_lo, v[56:57], 0x40420000, v[56:57]
	s_delay_alu instid0(VALU_DEP_4) | instskip(SKIP_3) | instid1(VALU_DEP_3)
	v_mul_f32_e32 v106, 0xc0400000, v84
	v_dual_sub_f32 v12, -v83, v84 :: v_dual_sub_f32 v94, v84, v83
	v_dual_sub_f32 v95, -v83, v85 :: v_dual_sub_f32 v96, v85, v83
	;; [unrolled: 1-line block ×3, first 2 shown]
	v_dual_mul_f32 v12, 0x40400000, v12 :: v_dual_mul_f32 v97, 0x40400000, v94
	s_delay_alu instid0(VALU_DEP_2) | instskip(SKIP_1) | instid1(VALU_DEP_3)
	v_dual_mul_f32 v99, 0x40400000, v95 :: v_dual_mul_f32 v102, 0x40400000, v98
	v_mul_f32_e32 v110, 0xc0400000, v85
	v_cvt_f64_f32_e32 v[94:95], v12
	v_mul_f32_e32 v12, 0x40400000, v96
	v_cvt_f64_f32_e32 v[96:97], v97
	v_cvt_f64_f32_e32 v[98:99], v99
	;; [unrolled: 1-line block ×3, first 2 shown]
	v_fma_f32 v107, 0xc0400000, v84, 1.0
	v_cvt_f64_f32_e32 v[100:101], v12
	v_mul_f32_e32 v12, 0x40400000, v104
	v_fma_f32 v104, 0xc0400000, v83, 1.0
	v_fma_f32 v108, 0xc0400000, v85, 1.0
	v_mul_f32_e32 v134, v110, v110
	v_mul_f32_e32 v112, v106, v106
	v_cvt_f64_f32_e32 v[106:107], v107
	v_cvt_f64_f32_e32 v[104:105], v104
	v_cvt_f64_f32_e32 v[108:109], v108
	v_rcp_f64_e32 v[88:89], v[86:87]
	v_cvt_f64_f32_e32 v[112:113], v112
	v_add_f64_e32 v[114:115], 1.0, v[94:95]
	v_add_f64_e32 v[118:119], 1.0, v[96:97]
	;; [unrolled: 1-line block ×3, first 2 shown]
	v_mul_f64_e32 v[124:125], v[98:99], v[98:99]
	v_add_f64_e32 v[130:131], 1.0, v[102:103]
	v_add_f64_e32 v[126:127], 1.0, v[100:101]
	v_mul_f64_e32 v[128:129], v[100:101], v[100:101]
	v_mul_f64_e32 v[132:133], v[102:103], v[102:103]
	v_fmac_f64_e32 v[106:107], 0.5, v[112:113]
	v_cvt_f64_f32_e32 v[112:113], v83
	s_delay_alu instid0(TRANS32_DEP_1) | instskip(SKIP_3) | instid1(VALU_DEP_4)
	v_fma_f64 v[90:91], -v[86:87], v[88:89], 1.0
	v_fmac_f64_e32 v[122:123], 0.5, v[124:125]
	v_fmac_f64_e32 v[126:127], 0.5, v[128:129]
	;; [unrolled: 1-line block ×3, first 2 shown]
	v_fmac_f64_e32 v[88:89], v[88:89], v[90:91]
	s_delay_alu instid0(VALU_DEP_1) | instskip(NEXT) | instid1(VALU_DEP_1)
	v_fma_f64 v[90:91], -v[86:87], v[88:89], 1.0
	v_fmac_f64_e32 v[88:89], v[88:89], v[90:91]
	s_delay_alu instid0(VALU_DEP_1) | instskip(NEXT) | instid1(VALU_DEP_1)
	v_mul_f64_e32 v[90:91], v[92:93], v[88:89]
	v_fma_f64 v[86:87], -v[86:87], v[90:91], v[92:93]
	v_cvt_f64_f32_e32 v[92:93], v12
	v_mul_f32_e32 v12, 0xc0400000, v83
	s_delay_alu instid0(VALU_DEP_1) | instskip(NEXT) | instid1(VALU_DEP_1)
	v_mul_f32_e32 v12, v12, v12
	v_cvt_f64_f32_e32 v[110:111], v12
	v_mul_f32_e32 v12, v84, v84
	s_delay_alu instid0(VALU_DEP_1) | instskip(NEXT) | instid1(VALU_DEP_1)
	v_dual_mul_f64 v[120:121], v[96:97], v[96:97] :: v_dual_fmac_f32 v12, v83, v83
	v_dual_mul_f64 v[116:117], v[94:95], v[94:95] :: v_dual_fmac_f32 v12, v85, v85
	s_delay_alu instid0(VALU_DEP_1)
	v_mul_f32_e32 v12, 0x40400000, v12
	v_div_fmas_f64 v[86:87], v[86:87], v[88:89], v[90:91]
	v_cvt_f64_f32_e32 v[88:89], v134
	v_add_f64_e32 v[90:91], 1.0, v[92:93]
	v_mul_f64_e32 v[134:135], v[92:93], v[92:93]
	v_cvt_f64_f32_e32 v[136:137], v12
	v_fmac_f64_e32 v[104:105], 0.5, v[110:111]
	v_fmac_f64_e32 v[118:119], 0.5, v[120:121]
	v_cvt_f64_f32_e32 v[120:121], v85
	v_fmac_f64_e32 v[114:115], 0.5, v[116:117]
	v_cvt_f64_f32_e32 v[116:117], v84
	v_div_fixup_f64 v[56:57], v[86:87], 0x40420000, v[56:57]
	v_fmac_f64_e32 v[108:109], 0.5, v[88:89]
	v_fmac_f64_e32 v[90:91], 0.5, v[134:135]
	v_fmac_f64_e32 v[122:123], -0.5, v[136:137]
	v_fmac_f64_e32 v[126:127], -0.5, v[136:137]
	;; [unrolled: 1-line block ×4, first 2 shown]
	v_fma_f64 v[88:89], v[136:137], -0.5, 1.0
	v_fmac_f64_e32 v[104:105], -0.5, v[136:137]
	v_fmac_f64_e32 v[118:119], -0.5, v[136:137]
	;; [unrolled: 1-line block ×3, first 2 shown]
	v_add_f64_e32 v[86:87], v[56:57], v[56:57]
	v_fmac_f64_e32 v[108:109], -0.5, v[136:137]
	v_mul_f64_e32 v[110:111], 0x40280000, v[56:57]
	v_fmac_f64_e32 v[90:91], -0.5, v[136:137]
	v_mul_f64_e32 v[122:123], v[56:57], v[122:123]
	v_mul_f64_e32 v[124:125], v[56:57], v[126:127]
	;; [unrolled: 1-line block ×10, first 2 shown]
	v_fma_f64 v[90:91], -v[86:87], v[94:95], v[114:115]
	v_fma_f64 v[94:95], -v[86:87], v[96:97], v[118:119]
	;; [unrolled: 1-line block ×5, first 2 shown]
	v_fma_f64 v[102:103], v[110:111], v[112:113], v[104:105]
	v_fma_f64 v[112:113], v[110:111], v[116:117], v[106:107]
	;; [unrolled: 1-line block ×3, first 2 shown]
	v_fma_f64 v[86:87], -v[86:87], v[92:93], v[56:57]
	v_mul_f64_e32 v[92:93], s[14:15], v[114:115]
	v_mul_f64_e32 v[114:115], s[14:15], v[118:119]
	;; [unrolled: 1-line block ×19, first 2 shown]
	v_fmac_f64_e32 v[92:93], v[0:1], v[30:31]
	v_fmac_f64_e32 v[114:115], v[0:1], v[32:33]
	;; [unrolled: 1-line block ×19, first 2 shown]
	v_mov_b64_e32 v[30:31], v[92:93]
	v_mov_b64_e32 v[32:33], v[114:115]
	;; [unrolled: 1-line block ×19, first 2 shown]
.LBB3_78:                               ;   in Loop: Header=BB3_12 Depth=3
	s_or_b32 exec_lo, exec_lo, s3
	s_and_b32 s3, s77, s2
	s_delay_alu instid0(SALU_CYCLE_1)
	s_and_saveexec_b32 s2, s3
	s_cbranch_execz .LBB3_10
; %bb.79:                               ;   in Loop: Header=BB3_12 Depth=3
	v_lshlrev_b64_e32 v[56:57], 2, v[16:17]
	s_delay_alu instid0(VALU_DEP_1)
	v_add_nc_u64_e32 v[86:87], s[16:17], v[56:57]
	v_add_nc_u64_e32 v[88:89], s[18:19], v[56:57]
	;; [unrolled: 1-line block ×3, first 2 shown]
	global_store_b32 v[86:87], v83, off
	global_store_b32 v[88:89], v84, off
	;; [unrolled: 1-line block ×3, first 2 shown]
	s_branch .LBB3_10
.LBB3_80:                               ;   in Loop: Header=BB3_12 Depth=3
	v_cmp_eq_u16_e32 vcc_lo, 3, v84
	s_and_b32 s2, vcc_lo, exec_lo
	s_and_not1_saveexec_b32 s3, s3
	s_cbranch_execz .LBB3_58
.LBB3_81:                               ;   in Loop: Header=BB3_12 Depth=3
	s_mov_b32 s26, s2
	s_mov_b32 s27, exec_lo
	v_cmpx_eq_u16_e32 1, v84
	s_cbranch_execz .LBB3_83
; %bb.82:                               ;   in Loop: Header=BB3_12 Depth=3
	s_wait_loadcnt 0x0
	v_add_f64_e32 v[34:35], v[2:3], v[34:35]
	s_or_b32 s26, s2, exec_lo
.LBB3_83:                               ;   in Loop: Header=BB3_12 Depth=3
	s_or_b32 exec_lo, exec_lo, s27
	s_delay_alu instid0(SALU_CYCLE_1) | instskip(SKIP_1) | instid1(SALU_CYCLE_1)
	s_and_not1_b32 s2, s2, exec_lo
	s_and_b32 s26, s26, exec_lo
	s_or_b32 s2, s2, s26
	s_or_b32 exec_lo, exec_lo, s3
	s_and_saveexec_b32 s3, s2
	s_cbranch_execnz .LBB3_59
	s_branch .LBB3_60
.LBB3_84:                               ;   in Loop: Header=BB3_12 Depth=3
	s_mov_b32 s2, -1
	s_mov_b32 s27, exec_lo
	v_cmpx_lt_i16_e32 4, v84
; %bb.85:                               ;   in Loop: Header=BB3_12 Depth=3
	v_cmp_eq_u16_e32 vcc_lo, 5, v84
	s_xor_b32 s2, exec_lo, -1
	s_and_b32 s26, vcc_lo, exec_lo
; %bb.86:                               ;   in Loop: Header=BB3_12 Depth=3
	s_or_b32 exec_lo, exec_lo, s27
	s_delay_alu instid0(SALU_CYCLE_1)
	s_and_b32 s2, s2, exec_lo
	s_and_b32 s26, s26, exec_lo
	s_and_not1_saveexec_b32 s3, s3
	s_cbranch_execz .LBB3_62
.LBB3_87:                               ;   in Loop: Header=BB3_12 Depth=3
	v_cmp_eq_u16_e32 vcc_lo, 1, v84
	s_and_not1_b32 s26, s26, exec_lo
	s_and_b32 s27, vcc_lo, exec_lo
	s_delay_alu instid0(SALU_CYCLE_1)
	s_or_b32 s26, s26, s27
	s_or_b32 exec_lo, exec_lo, s3
	s_and_saveexec_b32 s3, s26
	s_cbranch_execz .LBB3_63
.LBB3_88:                               ;   in Loop: Header=BB3_12 Depth=3
	v_and_b32_e32 v56, 0xff, v83
	s_mov_b32 s26, s2
	s_mov_b32 s27, exec_lo
	s_delay_alu instid0(VALU_DEP_1)
	v_cmpx_lt_i16_e32 3, v56
	s_xor_b32 s27, exec_lo, s27
; %bb.89:                               ;   in Loop: Header=BB3_12 Depth=3
	v_cmp_eq_u16_e32 vcc_lo, 4, v56
	s_and_not1_b32 s26, s2, exec_lo
                                        ; implicit-def: $vgpr56
	s_and_b32 s29, vcc_lo, exec_lo
	s_delay_alu instid0(SALU_CYCLE_1)
	s_or_b32 s26, s26, s29
; %bb.90:                               ;   in Loop: Header=BB3_12 Depth=3
	s_and_not1_saveexec_b32 s27, s27
; %bb.91:                               ;   in Loop: Header=BB3_12 Depth=3
	v_cmp_eq_u16_e32 vcc_lo, 1, v56
	s_and_not1_b32 s26, s26, exec_lo
	s_and_b32 s29, vcc_lo, exec_lo
	s_delay_alu instid0(SALU_CYCLE_1)
	s_or_b32 s26, s26, s29
; %bb.92:                               ;   in Loop: Header=BB3_12 Depth=3
	s_or_b32 exec_lo, exec_lo, s27
	s_delay_alu instid0(SALU_CYCLE_1)
	s_and_not1_b32 s2, s2, exec_lo
	s_and_b32 s26, s26, exec_lo
	s_wait_loadcnt 0x0
	v_add_f64_e32 v[20:21], v[4:5], v[20:21]
	s_or_b32 s2, s2, s26
	s_or_b32 exec_lo, exec_lo, s3
	s_and_saveexec_b32 s3, s2
	s_cbranch_execnz .LBB3_64
	s_branch .LBB3_65
.LBB3_93:                               ;   in Loop: Header=BB3_12 Depth=3
	s_mov_b32 s27, -1
	s_mov_b32 s26, exec_lo
                                        ; implicit-def: $vgpr56_vgpr57
	v_cmpx_lt_i16_e32 3, v84
	s_cbranch_execz .LBB3_99
; %bb.94:                               ;   in Loop: Header=BB3_12 Depth=3
	s_mov_b32 s27, 0
	s_mov_b32 s29, exec_lo
	v_cmpx_lt_i16_e32 4, v84
	s_xor_b32 s29, exec_lo, s29
; %bb.95:                               ;   in Loop: Header=BB3_12 Depth=3
	v_cmp_eq_u16_e64 s3, 5, v84
	s_and_b32 s84, s3, exec_lo
; %bb.96:                               ;   in Loop: Header=BB3_12 Depth=3
	s_or_saveexec_b32 s3, s29
	s_wait_loadcnt 0x0
	v_mov_b64_e32 v[56:57], v[54:55]
	s_xor_b32 exec_lo, exec_lo, s3
	s_cbranch_execz .LBB3_98
; %bb.97:                               ;   in Loop: Header=BB3_12 Depth=3
	v_add_f64_e32 v[56:57], 0, v[54:55]
	s_mov_b32 s27, exec_lo
.LBB3_98:                               ;   in Loop: Header=BB3_12 Depth=3
	s_or_b32 exec_lo, exec_lo, s3
	s_delay_alu instid0(SALU_CYCLE_1)
	s_and_b32 s104, s84, exec_lo
	s_and_b32 s84, s27, exec_lo
	s_xor_b32 s27, exec_lo, -1
.LBB3_99:                               ;   in Loop: Header=BB3_12 Depth=3
	s_or_b32 exec_lo, exec_lo, s26
	s_delay_alu instid0(SALU_CYCLE_1)
	s_and_b32 s104, s104, exec_lo
	s_and_b32 vcc_hi, s84, exec_lo
	s_and_b32 s84, s27, exec_lo
	s_and_not1_saveexec_b32 s85, s85
	s_cbranch_execz .LBB3_67
.LBB3_100:                              ;   in Loop: Header=BB3_12 Depth=3
	v_cmp_lt_i16_e64 s3, 1, v84
	s_and_saveexec_b32 s26, s3
	s_delay_alu instid0(SALU_CYCLE_1)
	s_xor_b32 s3, exec_lo, s26
	s_cbranch_execz .LBB3_102
; %bb.101:                              ;   in Loop: Header=BB3_12 Depth=3
	s_mov_b32 s83, exec_lo
	s_wait_loadcnt 0x0
	v_add_f64_e32 v[44:45], 0, v[44:45]
.LBB3_102:                              ;   in Loop: Header=BB3_12 Depth=3
	s_and_not1_saveexec_b32 s26, s3
	s_cbranch_execz .LBB3_106
; %bb.103:                              ;   in Loop: Header=BB3_12 Depth=3
	s_mov_b32 s27, s83
	s_mov_b32 s29, exec_lo
	v_cmpx_eq_u16_e32 0, v84
	s_cbranch_execz .LBB3_105
; %bb.104:                              ;   in Loop: Header=BB3_12 Depth=3
	s_wait_loadcnt 0x0
	v_add_f64_e32 v[46:47], v[6:7], v[46:47]
	s_or_b32 s27, s83, exec_lo
.LBB3_105:                              ;   in Loop: Header=BB3_12 Depth=3
	s_or_b32 exec_lo, exec_lo, s29
	s_delay_alu instid0(SALU_CYCLE_1) | instskip(SKIP_1) | instid1(SALU_CYCLE_1)
	s_and_not1_b32 s3, s83, exec_lo
	s_and_b32 s27, s27, exec_lo
	s_or_b32 s83, s3, s27
.LBB3_106:                              ;   in Loop: Header=BB3_12 Depth=3
	s_or_b32 exec_lo, exec_lo, s26
	s_mov_b32 s3, 0
	s_mov_b32 s27, s84
	s_and_saveexec_b32 s26, s83
	s_cbranch_execz .LBB3_112
; %bb.107:                              ;   in Loop: Header=BB3_12 Depth=3
	v_and_b32_e32 v56, 0xff, v83
	s_mov_b32 s27, 0
	s_mov_b32 s29, exec_lo
	s_delay_alu instid0(VALU_DEP_1)
	v_cmpx_lt_i16_e32 1, v56
	s_xor_b32 s29, exec_lo, s29
; %bb.108:                              ;   in Loop: Header=BB3_12 Depth=3
	v_cmp_eq_u16_e64 s3, 2, v56
                                        ; implicit-def: $vgpr56
	s_and_b32 s27, s3, exec_lo
; %bb.109:                              ;   in Loop: Header=BB3_12 Depth=3
	s_or_saveexec_b32 s83, s29
	s_mov_b32 s3, s84
	s_xor_b32 exec_lo, exec_lo, s83
; %bb.110:                              ;   in Loop: Header=BB3_12 Depth=3
	v_cmp_eq_u16_e64 s3, 0, v56
	s_and_not1_b32 s29, s84, exec_lo
	s_and_b32 s3, s3, exec_lo
	s_delay_alu instid0(SALU_CYCLE_1)
	s_or_b32 s3, s29, s3
; %bb.111:                              ;   in Loop: Header=BB3_12 Depth=3
	s_or_b32 exec_lo, exec_lo, s83
	s_delay_alu instid0(SALU_CYCLE_1)
	s_and_not1_b32 s29, s84, exec_lo
	s_and_b32 s83, s3, exec_lo
	s_wait_loadcnt 0x0
	v_add_f64_e32 v[42:43], v[10:11], v[42:43]
	s_and_b32 s3, s27, exec_lo
	s_or_b32 s27, s29, s83
.LBB3_112:                              ;   in Loop: Header=BB3_12 Depth=3
	s_or_b32 exec_lo, exec_lo, s26
	s_wait_loadcnt 0x0
	v_mov_b64_e32 v[56:57], v[54:55]
	s_and_not1_b32 s26, s84, exec_lo
	s_and_b32 s27, s27, exec_lo
	s_and_b32 s83, s3, exec_lo
	s_or_b32 s84, s26, s27
	s_or_b32 exec_lo, exec_lo, s85
	s_and_saveexec_b32 s26, s84
	s_cbranch_execnz .LBB3_68
	s_branch .LBB3_69
.LBB3_113:                              ;   in Loop: Header=BB3_12 Depth=3
	s_mov_b32 s27, -1
	s_mov_b32 s85, s83
	s_mov_b32 vcc_hi, exec_lo
	v_cmpx_lt_i16_e32 3, v84
; %bb.114:                              ;   in Loop: Header=BB3_12 Depth=3
	v_cmp_eq_u16_e64 s3, 4, v84
	s_and_not1_b32 s29, s83, exec_lo
	s_xor_b32 s27, exec_lo, -1
	s_and_b32 s3, s3, exec_lo
	s_delay_alu instid0(SALU_CYCLE_1)
	s_or_b32 s85, s29, s3
; %bb.115:                              ;   in Loop: Header=BB3_12 Depth=3
	s_or_b32 exec_lo, exec_lo, vcc_hi
	s_wait_loadcnt 0x0
	v_dual_add_f64 v[14:15], v[10:11], v[50:51] :: v_dual_mov_b32 v60, v84
	s_and_not1_b32 s3, s83, exec_lo
	s_and_b32 s29, s85, exec_lo
	s_and_b32 s85, s27, exec_lo
	s_or_b32 s83, s3, s29
	s_delay_alu instid0(VALU_DEP_1)
	v_mov_b64_e32 v[50:51], v[14:15]
	s_or_b32 exec_lo, exec_lo, s26
	v_mov_b64_e32 v[54:55], v[48:49]
	s_and_saveexec_b32 s26, s83
	s_cbranch_execz .LBB3_71
.LBB3_116:                              ;   in Loop: Header=BB3_12 Depth=3
	v_cmp_eq_u16_e64 s3, 2, v84
	v_add_f64_e32 v[54:55], 0, v[48:49]
	s_and_b32 s84, s3, exec_lo
	s_or_b32 exec_lo, exec_lo, s26
	s_and_saveexec_b32 s26, s85
	s_cbranch_execz .LBB3_72
.LBB3_117:                              ;   in Loop: Header=BB3_12 Depth=3
	v_cmp_eq_u16_e64 s3, 0, v60
	v_mov_b64_e32 v[54:55], v[48:49]
	v_mov_b64_e32 v[50:51], v[14:15]
	s_and_not1_b32 s27, s104, exec_lo
	s_and_b32 s3, s3, exec_lo
	s_delay_alu instid0(SALU_CYCLE_1)
	s_or_b32 s104, s27, s3
	s_or_b32 exec_lo, exec_lo, s26
	s_and_saveexec_b32 s26, s104
	s_cbranch_execz .LBB3_73
.LBB3_118:                              ;   in Loop: Header=BB3_12 Depth=3
	v_add_f64_e32 v[36:37], v[8:9], v[36:37]
	v_cmp_eq_u16_e64 s3, 5, v84
	v_mov_b64_e32 v[54:55], v[48:49]
	s_and_not1_b32 s27, s84, exec_lo
	s_and_b32 s3, s3, exec_lo
	s_delay_alu instid0(SALU_CYCLE_1)
	s_or_b32 s84, s27, s3
	s_or_b32 exec_lo, exec_lo, s26
	s_and_saveexec_b32 s3, s84
	s_cbranch_execnz .LBB3_74
	s_branch .LBB3_75
.LBB3_119:
	s_sendmsg sendmsg(MSG_DEALLOC_VGPRS)
	s_endpgm
	.section	.rodata,"a",@progbits
	.p2align	6, 0x0
	.amdhsa_kernel _Z20collide_and_stream_gIL12lattice_type19EEv8lbm_vars5BoxCUddbi
		.amdhsa_group_segment_fixed_size 0
		.amdhsa_private_segment_fixed_size 0
		.amdhsa_kernarg_size 424
		.amdhsa_user_sgpr_count 2
		.amdhsa_user_sgpr_dispatch_ptr 0
		.amdhsa_user_sgpr_queue_ptr 0
		.amdhsa_user_sgpr_kernarg_segment_ptr 1
		.amdhsa_user_sgpr_dispatch_id 0
		.amdhsa_user_sgpr_kernarg_preload_length 0
		.amdhsa_user_sgpr_kernarg_preload_offset 0
		.amdhsa_user_sgpr_private_segment_size 0
		.amdhsa_wavefront_size32 1
		.amdhsa_uses_dynamic_stack 0
		.amdhsa_enable_private_segment 0
		.amdhsa_system_sgpr_workgroup_id_x 1
		.amdhsa_system_sgpr_workgroup_id_y 1
		.amdhsa_system_sgpr_workgroup_id_z 1
		.amdhsa_system_sgpr_workgroup_info 0
		.amdhsa_system_vgpr_workitem_id 1
		.amdhsa_next_free_vgpr 139
		.amdhsa_next_free_sgpr 105
		.amdhsa_named_barrier_count 0
		.amdhsa_reserve_vcc 1
		.amdhsa_float_round_mode_32 0
		.amdhsa_float_round_mode_16_64 0
		.amdhsa_float_denorm_mode_32 3
		.amdhsa_float_denorm_mode_16_64 3
		.amdhsa_fp16_overflow 0
		.amdhsa_memory_ordered 1
		.amdhsa_forward_progress 1
		.amdhsa_inst_pref_size 51
		.amdhsa_round_robin_scheduling 0
		.amdhsa_exception_fp_ieee_invalid_op 0
		.amdhsa_exception_fp_denorm_src 0
		.amdhsa_exception_fp_ieee_div_zero 0
		.amdhsa_exception_fp_ieee_overflow 0
		.amdhsa_exception_fp_ieee_underflow 0
		.amdhsa_exception_fp_ieee_inexact 0
		.amdhsa_exception_int_div_zero 0
	.end_amdhsa_kernel
	.section	.text._Z20collide_and_stream_gIL12lattice_type19EEv8lbm_vars5BoxCUddbi,"axG",@progbits,_Z20collide_and_stream_gIL12lattice_type19EEv8lbm_vars5BoxCUddbi,comdat
.Lfunc_end3:
	.size	_Z20collide_and_stream_gIL12lattice_type19EEv8lbm_vars5BoxCUddbi, .Lfunc_end3-_Z20collide_and_stream_gIL12lattice_type19EEv8lbm_vars5BoxCUddbi
                                        ; -- End function
	.set _Z20collide_and_stream_gIL12lattice_type19EEv8lbm_vars5BoxCUddbi.num_vgpr, 139
	.set _Z20collide_and_stream_gIL12lattice_type19EEv8lbm_vars5BoxCUddbi.num_agpr, 0
	.set _Z20collide_and_stream_gIL12lattice_type19EEv8lbm_vars5BoxCUddbi.numbered_sgpr, 105
	.set _Z20collide_and_stream_gIL12lattice_type19EEv8lbm_vars5BoxCUddbi.num_named_barrier, 0
	.set _Z20collide_and_stream_gIL12lattice_type19EEv8lbm_vars5BoxCUddbi.private_seg_size, 0
	.set _Z20collide_and_stream_gIL12lattice_type19EEv8lbm_vars5BoxCUddbi.uses_vcc, 1
	.set _Z20collide_and_stream_gIL12lattice_type19EEv8lbm_vars5BoxCUddbi.uses_flat_scratch, 0
	.set _Z20collide_and_stream_gIL12lattice_type19EEv8lbm_vars5BoxCUddbi.has_dyn_sized_stack, 0
	.set _Z20collide_and_stream_gIL12lattice_type19EEv8lbm_vars5BoxCUddbi.has_recursion, 0
	.set _Z20collide_and_stream_gIL12lattice_type19EEv8lbm_vars5BoxCUddbi.has_indirect_call, 0
	.section	.AMDGPU.csdata,"",@progbits
; Kernel info:
; codeLenInByte = 6456
; TotalNumSgprs: 107
; NumVgprs: 139
; ScratchSize: 0
; MemoryBound: 0
; FloatMode: 240
; IeeeMode: 1
; LDSByteSize: 0 bytes/workgroup (compile time only)
; SGPRBlocks: 0
; VGPRBlocks: 8
; NumSGPRsForWavesPerEU: 107
; NumVGPRsForWavesPerEU: 139
; NamedBarCnt: 0
; Occupancy: 7
; WaveLimiterHint : 1
; COMPUTE_PGM_RSRC2:SCRATCH_EN: 0
; COMPUTE_PGM_RSRC2:USER_SGPR: 2
; COMPUTE_PGM_RSRC2:TRAP_HANDLER: 0
; COMPUTE_PGM_RSRC2:TGID_X_EN: 1
; COMPUTE_PGM_RSRC2:TGID_Y_EN: 1
; COMPUTE_PGM_RSRC2:TGID_Z_EN: 1
; COMPUTE_PGM_RSRC2:TIDIG_COMP_CNT: 1
	.text
	.p2alignl 7, 3214868480
	.fill 96, 4, 3214868480
	.section	.AMDGPU.gpr_maximums,"",@progbits
	.set amdgpu.max_num_vgpr, 0
	.set amdgpu.max_num_agpr, 0
	.set amdgpu.max_num_sgpr, 0
	.text
	.protected	C_dirs                  ; @C_dirs
	.type	C_dirs,@object
	.section	.rodata,"a",@progbits
	.globl	C_dirs
	.p2align	4, 0x0
C_dirs:
	.zero	81
	.size	C_dirs, 81

	.type	_ZL3C_p,@object                 ; @_ZL3C_p
	.globl	_ZL3C_p
_ZL3C_p:
	.zero	12
	.size	_ZL3C_p, 12

	.type	__hip_cuid_20b1ca3c3daeca39,@object ; @__hip_cuid_20b1ca3c3daeca39
	.section	.bss,"aw",@nobits
	.globl	__hip_cuid_20b1ca3c3daeca39
__hip_cuid_20b1ca3c3daeca39:
	.byte	0                               ; 0x0
	.size	__hip_cuid_20b1ca3c3daeca39, 1

	.ident	"AMD clang version 22.0.0git (https://github.com/RadeonOpenCompute/llvm-project roc-7.2.4 26084 f58b06dce1f9c15707c5f808fd002e18c2accf7e)"
	.section	".note.GNU-stack","",@progbits
	.addrsig
	.addrsig_sym C_dirs
	.addrsig_sym _ZL3C_p
	.addrsig_sym __hip_cuid_20b1ca3c3daeca39
	.amdgpu_metadata
---
amdhsa.kernels:
  - .args:
      - .address_space:  global
        .offset:         0
        .size:           8
        .value_kind:     global_buffer
      - .actual_access:  write_only
        .address_space:  global
        .offset:         8
        .size:           8
        .value_kind:     global_buffer
      - .actual_access:  write_only
        .address_space:  global
        .offset:         16
        .size:           8
        .value_kind:     global_buffer
      - .offset:         24
        .size:           24
        .value_kind:     by_value
      - .offset:         48
        .size:           24
        .value_kind:     by_value
      - .offset:         72
        .size:           4
        .value_kind:     by_value
      - .offset:         76
        .size:           4
        .value_kind:     by_value
      - .offset:         80
        .size:           4
        .value_kind:     by_value
      - .offset:         84
        .size:           4
        .value_kind:     by_value
      - .offset:         88
        .size:           4
        .value_kind:     hidden_block_count_x
      - .offset:         92
        .size:           4
        .value_kind:     hidden_block_count_y
      - .offset:         96
        .size:           4
        .value_kind:     hidden_block_count_z
      - .offset:         100
        .size:           2
        .value_kind:     hidden_group_size_x
      - .offset:         102
        .size:           2
        .value_kind:     hidden_group_size_y
      - .offset:         104
        .size:           2
        .value_kind:     hidden_group_size_z
      - .offset:         106
        .size:           2
        .value_kind:     hidden_remainder_x
      - .offset:         108
        .size:           2
        .value_kind:     hidden_remainder_y
      - .offset:         110
        .size:           2
        .value_kind:     hidden_remainder_z
      - .offset:         128
        .size:           8
        .value_kind:     hidden_global_offset_x
      - .offset:         136
        .size:           8
        .value_kind:     hidden_global_offset_y
      - .offset:         144
        .size:           8
        .value_kind:     hidden_global_offset_z
      - .offset:         152
        .size:           2
        .value_kind:     hidden_grid_dims
    .group_segment_fixed_size: 0
    .kernarg_segment_align: 8
    .kernarg_segment_size: 344
    .language:       OpenCL C
    .language_version:
      - 2
      - 0
    .max_flat_workgroup_size: 1024
    .name:           _Z9make_flagPcPiS_5BoxCU10outer_walliiii
    .private_segment_fixed_size: 0
    .sgpr_count:     96
    .sgpr_spill_count: 0
    .symbol:         _Z9make_flagPcPiS_5BoxCU10outer_walliiii.kd
    .uniform_work_group_size: 1
    .uses_dynamic_stack: false
    .vgpr_count:     26
    .vgpr_spill_count: 0
    .wavefront_size: 32
  - .args:
      - .address_space:  global
        .offset:         0
        .size:           8
        .value_kind:     global_buffer
      - .address_space:  global
        .offset:         8
        .size:           8
        .value_kind:     global_buffer
      - .address_space:  global
        .offset:         16
        .size:           8
        .value_kind:     global_buffer
      - .offset:         24
        .size:           24
        .value_kind:     by_value
      - .offset:         48
        .size:           4
        .value_kind:     by_value
      - .offset:         56
        .size:           4
        .value_kind:     hidden_block_count_x
      - .offset:         60
        .size:           4
        .value_kind:     hidden_block_count_y
      - .offset:         64
        .size:           4
        .value_kind:     hidden_block_count_z
      - .offset:         68
        .size:           2
        .value_kind:     hidden_group_size_x
      - .offset:         70
        .size:           2
        .value_kind:     hidden_group_size_y
      - .offset:         72
        .size:           2
        .value_kind:     hidden_group_size_z
      - .offset:         74
        .size:           2
        .value_kind:     hidden_remainder_x
      - .offset:         76
        .size:           2
        .value_kind:     hidden_remainder_y
      - .offset:         78
        .size:           2
        .value_kind:     hidden_remainder_z
      - .offset:         96
        .size:           8
        .value_kind:     hidden_global_offset_x
      - .offset:         104
        .size:           8
        .value_kind:     hidden_global_offset_y
      - .offset:         112
        .size:           8
        .value_kind:     hidden_global_offset_z
      - .offset:         120
        .size:           2
        .value_kind:     hidden_grid_dims
    .group_segment_fixed_size: 0
    .kernarg_segment_align: 8
    .kernarg_segment_size: 312
    .language:       OpenCL C
    .language_version:
      - 2
      - 0
    .max_flat_workgroup_size: 1024
    .name:           _Z9find_wallILi19EEvPcS0_Pi5BoxCUi
    .private_segment_fixed_size: 0
    .sgpr_count:     107
    .sgpr_spill_count: 1
    .symbol:         _Z9find_wallILi19EEvPcS0_Pi5BoxCUi.kd
    .uniform_work_group_size: 1
    .uses_dynamic_stack: false
    .vgpr_count:     56
    .vgpr_spill_count: 0
    .wavefront_size: 32
  - .args:
      - .offset:         0
        .size:           120
        .value_kind:     by_value
      - .offset:         120
        .size:           24
        .value_kind:     by_value
      - .offset:         144
        .size:           24
        .value_kind:     by_value
      - .offset:         168
        .size:           8
        .value_kind:     by_value
      - .offset:         176
        .size:           4
        .value_kind:     by_value
      - .offset:         180
        .size:           4
        .value_kind:     by_value
      - .offset:         184
        .size:           4
        .value_kind:     by_value
      - .offset:         192
        .size:           8
        .value_kind:     by_value
      - .offset:         200
        .size:           4
        .value_kind:     hidden_block_count_x
      - .offset:         204
        .size:           4
        .value_kind:     hidden_block_count_y
      - .offset:         208
        .size:           4
        .value_kind:     hidden_block_count_z
      - .offset:         212
        .size:           2
        .value_kind:     hidden_group_size_x
      - .offset:         214
        .size:           2
        .value_kind:     hidden_group_size_y
      - .offset:         216
        .size:           2
        .value_kind:     hidden_group_size_z
      - .offset:         218
        .size:           2
        .value_kind:     hidden_remainder_x
      - .offset:         220
        .size:           2
        .value_kind:     hidden_remainder_y
      - .offset:         222
        .size:           2
        .value_kind:     hidden_remainder_z
      - .offset:         240
        .size:           8
        .value_kind:     hidden_global_offset_x
      - .offset:         248
        .size:           8
        .value_kind:     hidden_global_offset_y
      - .offset:         256
        .size:           8
        .value_kind:     hidden_global_offset_z
      - .offset:         264
        .size:           2
        .value_kind:     hidden_grid_dims
    .group_segment_fixed_size: 0
    .kernarg_segment_align: 8
    .kernarg_segment_size: 456
    .language:       OpenCL C
    .language_version:
      - 2
      - 0
    .max_flat_workgroup_size: 1024
    .name:           _Z15init_velocity_gIL12lattice_type19EEv8lbm_vars5BoxCUS2_dfffd
    .private_segment_fixed_size: 0
    .sgpr_count:     80
    .sgpr_spill_count: 0
    .symbol:         _Z15init_velocity_gIL12lattice_type19EEv8lbm_vars5BoxCUS2_dfffd.kd
    .uniform_work_group_size: 1
    .uses_dynamic_stack: false
    .vgpr_count:     79
    .vgpr_spill_count: 0
    .wavefront_size: 32
  - .args:
      - .offset:         0
        .size:           120
        .value_kind:     by_value
      - .offset:         120
        .size:           24
        .value_kind:     by_value
      - .offset:         144
        .size:           8
        .value_kind:     by_value
      - .offset:         152
        .size:           8
        .value_kind:     by_value
      - .offset:         160
        .size:           1
        .value_kind:     by_value
      - .offset:         164
        .size:           4
        .value_kind:     by_value
      - .offset:         168
        .size:           4
        .value_kind:     hidden_block_count_x
      - .offset:         172
        .size:           4
        .value_kind:     hidden_block_count_y
      - .offset:         176
        .size:           4
        .value_kind:     hidden_block_count_z
      - .offset:         180
        .size:           2
        .value_kind:     hidden_group_size_x
      - .offset:         182
        .size:           2
        .value_kind:     hidden_group_size_y
      - .offset:         184
        .size:           2
        .value_kind:     hidden_group_size_z
      - .offset:         186
        .size:           2
        .value_kind:     hidden_remainder_x
      - .offset:         188
        .size:           2
        .value_kind:     hidden_remainder_y
      - .offset:         190
        .size:           2
        .value_kind:     hidden_remainder_z
      - .offset:         208
        .size:           8
        .value_kind:     hidden_global_offset_x
      - .offset:         216
        .size:           8
        .value_kind:     hidden_global_offset_y
      - .offset:         224
        .size:           8
        .value_kind:     hidden_global_offset_z
      - .offset:         232
        .size:           2
        .value_kind:     hidden_grid_dims
    .group_segment_fixed_size: 0
    .kernarg_segment_align: 8
    .kernarg_segment_size: 424
    .language:       OpenCL C
    .language_version:
      - 2
      - 0
    .max_flat_workgroup_size: 64
    .name:           _Z20collide_and_stream_gIL12lattice_type19EEv8lbm_vars5BoxCUddbi
    .private_segment_fixed_size: 0
    .sgpr_count:     107
    .sgpr_spill_count: 5
    .symbol:         _Z20collide_and_stream_gIL12lattice_type19EEv8lbm_vars5BoxCUddbi.kd
    .uniform_work_group_size: 1
    .uses_dynamic_stack: false
    .vgpr_count:     139
    .vgpr_spill_count: 0
    .wavefront_size: 32
amdhsa.target:   amdgcn-amd-amdhsa--gfx1250
amdhsa.version:
  - 1
  - 2
...

	.end_amdgpu_metadata
